;; amdgpu-corpus repo=ROCm/composable_kernel kind=compiled arch=gfx1100 opt=O3
	.text
	.amdgcn_target "amdgcn-amd-amdhsa--gfx1100"
	.amdhsa_code_object_version 6
	.section	.text._ZN2ckL12flush_icacheEv,"axG",@progbits,_ZN2ckL12flush_icacheEv,comdat
	.globl	_ZN2ckL12flush_icacheEv         ; -- Begin function _ZN2ckL12flush_icacheEv
	.p2align	8
	.type	_ZN2ckL12flush_icacheEv,@function
_ZN2ckL12flush_icacheEv:                ; @_ZN2ckL12flush_icacheEv
; %bb.0:
	;;#ASMSTART
	s_icache_inv 
	s_nop 0 
	s_nop 0 
	;; [unrolled: 1-line block ×16, first 2 shown]
	
	;;#ASMEND
	s_endpgm
	.section	.rodata,"a",@progbits
	.p2align	6, 0x0
	.amdhsa_kernel _ZN2ckL12flush_icacheEv
		.amdhsa_group_segment_fixed_size 0
		.amdhsa_private_segment_fixed_size 0
		.amdhsa_kernarg_size 0
		.amdhsa_user_sgpr_count 15
		.amdhsa_user_sgpr_dispatch_ptr 0
		.amdhsa_user_sgpr_queue_ptr 0
		.amdhsa_user_sgpr_kernarg_segment_ptr 0
		.amdhsa_user_sgpr_dispatch_id 0
		.amdhsa_user_sgpr_private_segment_size 0
		.amdhsa_wavefront_size32 1
		.amdhsa_uses_dynamic_stack 0
		.amdhsa_enable_private_segment 0
		.amdhsa_system_sgpr_workgroup_id_x 1
		.amdhsa_system_sgpr_workgroup_id_y 0
		.amdhsa_system_sgpr_workgroup_id_z 0
		.amdhsa_system_sgpr_workgroup_info 0
		.amdhsa_system_vgpr_workitem_id 0
		.amdhsa_next_free_vgpr 1
		.amdhsa_next_free_sgpr 1
		.amdhsa_reserve_vcc 0
		.amdhsa_float_round_mode_32 0
		.amdhsa_float_round_mode_16_64 0
		.amdhsa_float_denorm_mode_32 3
		.amdhsa_float_denorm_mode_16_64 3
		.amdhsa_dx10_clamp 1
		.amdhsa_ieee_mode 1
		.amdhsa_fp16_overflow 0
		.amdhsa_workgroup_processor_mode 1
		.amdhsa_memory_ordered 1
		.amdhsa_forward_progress 0
		.amdhsa_shared_vgpr_count 0
		.amdhsa_exception_fp_ieee_invalid_op 0
		.amdhsa_exception_fp_denorm_src 0
		.amdhsa_exception_fp_ieee_div_zero 0
		.amdhsa_exception_fp_ieee_overflow 0
		.amdhsa_exception_fp_ieee_underflow 0
		.amdhsa_exception_fp_ieee_inexact 0
		.amdhsa_exception_int_div_zero 0
	.end_amdhsa_kernel
	.section	.text._ZN2ckL12flush_icacheEv,"axG",@progbits,_ZN2ckL12flush_icacheEv,comdat
.Lfunc_end0:
	.size	_ZN2ckL12flush_icacheEv, .Lfunc_end0-_ZN2ckL12flush_icacheEv
                                        ; -- End function
	.section	.AMDGPU.csdata,"",@progbits
; Kernel info:
; codeLenInByte = 344
; NumSgprs: 0
; NumVgprs: 0
; ScratchSize: 0
; MemoryBound: 0
; FloatMode: 240
; IeeeMode: 1
; LDSByteSize: 0 bytes/workgroup (compile time only)
; SGPRBlocks: 0
; VGPRBlocks: 0
; NumSGPRsForWavesPerEU: 1
; NumVGPRsForWavesPerEU: 1
; Occupancy: 16
; WaveLimiterHint : 0
; COMPUTE_PGM_RSRC2:SCRATCH_EN: 0
; COMPUTE_PGM_RSRC2:USER_SGPR: 15
; COMPUTE_PGM_RSRC2:TRAP_HANDLER: 0
; COMPUTE_PGM_RSRC2:TGID_X_EN: 1
; COMPUTE_PGM_RSRC2:TGID_Y_EN: 0
; COMPUTE_PGM_RSRC2:TGID_Z_EN: 0
; COMPUTE_PGM_RSRC2:TIDIG_COMP_CNT: 0
	.section	.text._ZN2ck37kernel_gemm_xdl_waveletmodel_cshuffleINS_53GridwiseGemm_k0mk1_k0nk1_mn_xdl_waveletmodel_cshuffleIDF16_fDF16_DF16_NS_16tensor_operation12element_wise11PassThroughES4_S4_LNS_25InMemoryDataOperationEnumE0ENS_16TensorDescriptorINS_5TupleIJNS_5EmbedINS7_IJiiEEENS7_IJiNS_17integral_constantIiLi1EEEEEELb0EEENS_11PassThroughIiEESF_EEENS7_IJNS_8SequenceIJLi0EEEENSH_IJLi1EEEENSH_IJLi2EEEEEEENS7_IJNSH_IJLi1ELi2EEEENSH_IJLi3EEEENSH_IJLi4EEEEEEENSH_IJLi3ELi4EEEElEESR_SR_Li1ELi256ELi256ELi256ELi128ELi32ELi8ELi8ELi16ELi16ELi8ELi4ENSH_IJLi4ELi64ELi1EEEENSH_IJLi1ELi0ELi2EEEEST_Li2ELi8ELi8ELb0ELi1ESS_ST_ST_Li2ELi8ELi8ELb0ELi1ELi1ELi1ENSH_IJLi1ELi32ELi1ELi8EEEELi4EEEDF16_DF16_S4_S4_S4_NS6_INS7_IJSD_SF_SF_NS_7UnMergeINS7_IJiNSA_IiLi8EEEEEELb0EEESF_EEENS7_IJSI_SJ_SK_SO_SN_EEENS7_IJSM_SN_SO_NSH_IJLi5ELi6EEEENSH_IJLi7EEEEEEENSH_IJLi5ELi7ELi6EEEElEES16_NS6_INS7_IJSD_SF_SF_NSW_INS7_IJiNSA_IiLi256EEEEEELb0EEENSW_INS7_IJiNSA_IiLi128EEEEEELb0EEEEEENS7_IJSI_SJ_SK_SN_SO_EEENS7_IJSM_SN_SO_S12_NSH_IJLi7ELi8EEEEEEENSH_IJLi5ELi6ELi7ELi8EEEElEENS_13TensorAdaptorINS7_IJNSW_ISC_Lb0EEES1K_NS_23Merge_v2_magic_divisionINS7_IJiiSB_SB_EEEEEEEENS7_IJSI_SJ_NSH_IJLi2ELi3ELi4ELi5EEEEEEENS7_IJNSH_IJLi2ELi4EEEENSH_IJLi3ELi5EEEENSH_IJLi6EEEEEEENSH_IJLi0ELi1EEEES1T_EELb1EEEvPKT0_S1Z_PT1_T2_T3_T4_T5_T6_T7_T8_,"axG",@progbits,_ZN2ck37kernel_gemm_xdl_waveletmodel_cshuffleINS_53GridwiseGemm_k0mk1_k0nk1_mn_xdl_waveletmodel_cshuffleIDF16_fDF16_DF16_NS_16tensor_operation12element_wise11PassThroughES4_S4_LNS_25InMemoryDataOperationEnumE0ENS_16TensorDescriptorINS_5TupleIJNS_5EmbedINS7_IJiiEEENS7_IJiNS_17integral_constantIiLi1EEEEEELb0EEENS_11PassThroughIiEESF_EEENS7_IJNS_8SequenceIJLi0EEEENSH_IJLi1EEEENSH_IJLi2EEEEEEENS7_IJNSH_IJLi1ELi2EEEENSH_IJLi3EEEENSH_IJLi4EEEEEEENSH_IJLi3ELi4EEEElEESR_SR_Li1ELi256ELi256ELi256ELi128ELi32ELi8ELi8ELi16ELi16ELi8ELi4ENSH_IJLi4ELi64ELi1EEEENSH_IJLi1ELi0ELi2EEEEST_Li2ELi8ELi8ELb0ELi1ESS_ST_ST_Li2ELi8ELi8ELb0ELi1ELi1ELi1ENSH_IJLi1ELi32ELi1ELi8EEEELi4EEEDF16_DF16_S4_S4_S4_NS6_INS7_IJSD_SF_SF_NS_7UnMergeINS7_IJiNSA_IiLi8EEEEEELb0EEESF_EEENS7_IJSI_SJ_SK_SO_SN_EEENS7_IJSM_SN_SO_NSH_IJLi5ELi6EEEENSH_IJLi7EEEEEEENSH_IJLi5ELi7ELi6EEEElEES16_NS6_INS7_IJSD_SF_SF_NSW_INS7_IJiNSA_IiLi256EEEEEELb0EEENSW_INS7_IJiNSA_IiLi128EEEEEELb0EEEEEENS7_IJSI_SJ_SK_SN_SO_EEENS7_IJSM_SN_SO_S12_NSH_IJLi7ELi8EEEEEEENSH_IJLi5ELi6ELi7ELi8EEEElEENS_13TensorAdaptorINS7_IJNSW_ISC_Lb0EEES1K_NS_23Merge_v2_magic_divisionINS7_IJiiSB_SB_EEEEEEEENS7_IJSI_SJ_NSH_IJLi2ELi3ELi4ELi5EEEEEEENS7_IJNSH_IJLi2ELi4EEEENSH_IJLi3ELi5EEEENSH_IJLi6EEEEEEENSH_IJLi0ELi1EEEES1T_EELb1EEEvPKT0_S1Z_PT1_T2_T3_T4_T5_T6_T7_T8_,comdat
	.protected	_ZN2ck37kernel_gemm_xdl_waveletmodel_cshuffleINS_53GridwiseGemm_k0mk1_k0nk1_mn_xdl_waveletmodel_cshuffleIDF16_fDF16_DF16_NS_16tensor_operation12element_wise11PassThroughES4_S4_LNS_25InMemoryDataOperationEnumE0ENS_16TensorDescriptorINS_5TupleIJNS_5EmbedINS7_IJiiEEENS7_IJiNS_17integral_constantIiLi1EEEEEELb0EEENS_11PassThroughIiEESF_EEENS7_IJNS_8SequenceIJLi0EEEENSH_IJLi1EEEENSH_IJLi2EEEEEEENS7_IJNSH_IJLi1ELi2EEEENSH_IJLi3EEEENSH_IJLi4EEEEEEENSH_IJLi3ELi4EEEElEESR_SR_Li1ELi256ELi256ELi256ELi128ELi32ELi8ELi8ELi16ELi16ELi8ELi4ENSH_IJLi4ELi64ELi1EEEENSH_IJLi1ELi0ELi2EEEEST_Li2ELi8ELi8ELb0ELi1ESS_ST_ST_Li2ELi8ELi8ELb0ELi1ELi1ELi1ENSH_IJLi1ELi32ELi1ELi8EEEELi4EEEDF16_DF16_S4_S4_S4_NS6_INS7_IJSD_SF_SF_NS_7UnMergeINS7_IJiNSA_IiLi8EEEEEELb0EEESF_EEENS7_IJSI_SJ_SK_SO_SN_EEENS7_IJSM_SN_SO_NSH_IJLi5ELi6EEEENSH_IJLi7EEEEEEENSH_IJLi5ELi7ELi6EEEElEES16_NS6_INS7_IJSD_SF_SF_NSW_INS7_IJiNSA_IiLi256EEEEEELb0EEENSW_INS7_IJiNSA_IiLi128EEEEEELb0EEEEEENS7_IJSI_SJ_SK_SN_SO_EEENS7_IJSM_SN_SO_S12_NSH_IJLi7ELi8EEEEEEENSH_IJLi5ELi6ELi7ELi8EEEElEENS_13TensorAdaptorINS7_IJNSW_ISC_Lb0EEES1K_NS_23Merge_v2_magic_divisionINS7_IJiiSB_SB_EEEEEEEENS7_IJSI_SJ_NSH_IJLi2ELi3ELi4ELi5EEEEEEENS7_IJNSH_IJLi2ELi4EEEENSH_IJLi3ELi5EEEENSH_IJLi6EEEEEEENSH_IJLi0ELi1EEEES1T_EELb1EEEvPKT0_S1Z_PT1_T2_T3_T4_T5_T6_T7_T8_ ; -- Begin function _ZN2ck37kernel_gemm_xdl_waveletmodel_cshuffleINS_53GridwiseGemm_k0mk1_k0nk1_mn_xdl_waveletmodel_cshuffleIDF16_fDF16_DF16_NS_16tensor_operation12element_wise11PassThroughES4_S4_LNS_25InMemoryDataOperationEnumE0ENS_16TensorDescriptorINS_5TupleIJNS_5EmbedINS7_IJiiEEENS7_IJiNS_17integral_constantIiLi1EEEEEELb0EEENS_11PassThroughIiEESF_EEENS7_IJNS_8SequenceIJLi0EEEENSH_IJLi1EEEENSH_IJLi2EEEEEEENS7_IJNSH_IJLi1ELi2EEEENSH_IJLi3EEEENSH_IJLi4EEEEEEENSH_IJLi3ELi4EEEElEESR_SR_Li1ELi256ELi256ELi256ELi128ELi32ELi8ELi8ELi16ELi16ELi8ELi4ENSH_IJLi4ELi64ELi1EEEENSH_IJLi1ELi0ELi2EEEEST_Li2ELi8ELi8ELb0ELi1ESS_ST_ST_Li2ELi8ELi8ELb0ELi1ELi1ELi1ENSH_IJLi1ELi32ELi1ELi8EEEELi4EEEDF16_DF16_S4_S4_S4_NS6_INS7_IJSD_SF_SF_NS_7UnMergeINS7_IJiNSA_IiLi8EEEEEELb0EEESF_EEENS7_IJSI_SJ_SK_SO_SN_EEENS7_IJSM_SN_SO_NSH_IJLi5ELi6EEEENSH_IJLi7EEEEEEENSH_IJLi5ELi7ELi6EEEElEES16_NS6_INS7_IJSD_SF_SF_NSW_INS7_IJiNSA_IiLi256EEEEEELb0EEENSW_INS7_IJiNSA_IiLi128EEEEEELb0EEEEEENS7_IJSI_SJ_SK_SN_SO_EEENS7_IJSM_SN_SO_S12_NSH_IJLi7ELi8EEEEEEENSH_IJLi5ELi6ELi7ELi8EEEElEENS_13TensorAdaptorINS7_IJNSW_ISC_Lb0EEES1K_NS_23Merge_v2_magic_divisionINS7_IJiiSB_SB_EEEEEEEENS7_IJSI_SJ_NSH_IJLi2ELi3ELi4ELi5EEEEEEENS7_IJNSH_IJLi2ELi4EEEENSH_IJLi3ELi5EEEENSH_IJLi6EEEEEEENSH_IJLi0ELi1EEEES1T_EELb1EEEvPKT0_S1Z_PT1_T2_T3_T4_T5_T6_T7_T8_
	.globl	_ZN2ck37kernel_gemm_xdl_waveletmodel_cshuffleINS_53GridwiseGemm_k0mk1_k0nk1_mn_xdl_waveletmodel_cshuffleIDF16_fDF16_DF16_NS_16tensor_operation12element_wise11PassThroughES4_S4_LNS_25InMemoryDataOperationEnumE0ENS_16TensorDescriptorINS_5TupleIJNS_5EmbedINS7_IJiiEEENS7_IJiNS_17integral_constantIiLi1EEEEEELb0EEENS_11PassThroughIiEESF_EEENS7_IJNS_8SequenceIJLi0EEEENSH_IJLi1EEEENSH_IJLi2EEEEEEENS7_IJNSH_IJLi1ELi2EEEENSH_IJLi3EEEENSH_IJLi4EEEEEEENSH_IJLi3ELi4EEEElEESR_SR_Li1ELi256ELi256ELi256ELi128ELi32ELi8ELi8ELi16ELi16ELi8ELi4ENSH_IJLi4ELi64ELi1EEEENSH_IJLi1ELi0ELi2EEEEST_Li2ELi8ELi8ELb0ELi1ESS_ST_ST_Li2ELi8ELi8ELb0ELi1ELi1ELi1ENSH_IJLi1ELi32ELi1ELi8EEEELi4EEEDF16_DF16_S4_S4_S4_NS6_INS7_IJSD_SF_SF_NS_7UnMergeINS7_IJiNSA_IiLi8EEEEEELb0EEESF_EEENS7_IJSI_SJ_SK_SO_SN_EEENS7_IJSM_SN_SO_NSH_IJLi5ELi6EEEENSH_IJLi7EEEEEEENSH_IJLi5ELi7ELi6EEEElEES16_NS6_INS7_IJSD_SF_SF_NSW_INS7_IJiNSA_IiLi256EEEEEELb0EEENSW_INS7_IJiNSA_IiLi128EEEEEELb0EEEEEENS7_IJSI_SJ_SK_SN_SO_EEENS7_IJSM_SN_SO_S12_NSH_IJLi7ELi8EEEEEEENSH_IJLi5ELi6ELi7ELi8EEEElEENS_13TensorAdaptorINS7_IJNSW_ISC_Lb0EEES1K_NS_23Merge_v2_magic_divisionINS7_IJiiSB_SB_EEEEEEEENS7_IJSI_SJ_NSH_IJLi2ELi3ELi4ELi5EEEEEEENS7_IJNSH_IJLi2ELi4EEEENSH_IJLi3ELi5EEEENSH_IJLi6EEEEEEENSH_IJLi0ELi1EEEES1T_EELb1EEEvPKT0_S1Z_PT1_T2_T3_T4_T5_T6_T7_T8_
	.p2align	8
	.type	_ZN2ck37kernel_gemm_xdl_waveletmodel_cshuffleINS_53GridwiseGemm_k0mk1_k0nk1_mn_xdl_waveletmodel_cshuffleIDF16_fDF16_DF16_NS_16tensor_operation12element_wise11PassThroughES4_S4_LNS_25InMemoryDataOperationEnumE0ENS_16TensorDescriptorINS_5TupleIJNS_5EmbedINS7_IJiiEEENS7_IJiNS_17integral_constantIiLi1EEEEEELb0EEENS_11PassThroughIiEESF_EEENS7_IJNS_8SequenceIJLi0EEEENSH_IJLi1EEEENSH_IJLi2EEEEEEENS7_IJNSH_IJLi1ELi2EEEENSH_IJLi3EEEENSH_IJLi4EEEEEEENSH_IJLi3ELi4EEEElEESR_SR_Li1ELi256ELi256ELi256ELi128ELi32ELi8ELi8ELi16ELi16ELi8ELi4ENSH_IJLi4ELi64ELi1EEEENSH_IJLi1ELi0ELi2EEEEST_Li2ELi8ELi8ELb0ELi1ESS_ST_ST_Li2ELi8ELi8ELb0ELi1ELi1ELi1ENSH_IJLi1ELi32ELi1ELi8EEEELi4EEEDF16_DF16_S4_S4_S4_NS6_INS7_IJSD_SF_SF_NS_7UnMergeINS7_IJiNSA_IiLi8EEEEEELb0EEESF_EEENS7_IJSI_SJ_SK_SO_SN_EEENS7_IJSM_SN_SO_NSH_IJLi5ELi6EEEENSH_IJLi7EEEEEEENSH_IJLi5ELi7ELi6EEEElEES16_NS6_INS7_IJSD_SF_SF_NSW_INS7_IJiNSA_IiLi256EEEEEELb0EEENSW_INS7_IJiNSA_IiLi128EEEEEELb0EEEEEENS7_IJSI_SJ_SK_SN_SO_EEENS7_IJSM_SN_SO_S12_NSH_IJLi7ELi8EEEEEEENSH_IJLi5ELi6ELi7ELi8EEEElEENS_13TensorAdaptorINS7_IJNSW_ISC_Lb0EEES1K_NS_23Merge_v2_magic_divisionINS7_IJiiSB_SB_EEEEEEEENS7_IJSI_SJ_NSH_IJLi2ELi3ELi4ELi5EEEEEEENS7_IJNSH_IJLi2ELi4EEEENSH_IJLi3ELi5EEEENSH_IJLi6EEEEEEENSH_IJLi0ELi1EEEES1T_EELb1EEEvPKT0_S1Z_PT1_T2_T3_T4_T5_T6_T7_T8_,@function
_ZN2ck37kernel_gemm_xdl_waveletmodel_cshuffleINS_53GridwiseGemm_k0mk1_k0nk1_mn_xdl_waveletmodel_cshuffleIDF16_fDF16_DF16_NS_16tensor_operation12element_wise11PassThroughES4_S4_LNS_25InMemoryDataOperationEnumE0ENS_16TensorDescriptorINS_5TupleIJNS_5EmbedINS7_IJiiEEENS7_IJiNS_17integral_constantIiLi1EEEEEELb0EEENS_11PassThroughIiEESF_EEENS7_IJNS_8SequenceIJLi0EEEENSH_IJLi1EEEENSH_IJLi2EEEEEEENS7_IJNSH_IJLi1ELi2EEEENSH_IJLi3EEEENSH_IJLi4EEEEEEENSH_IJLi3ELi4EEEElEESR_SR_Li1ELi256ELi256ELi256ELi128ELi32ELi8ELi8ELi16ELi16ELi8ELi4ENSH_IJLi4ELi64ELi1EEEENSH_IJLi1ELi0ELi2EEEEST_Li2ELi8ELi8ELb0ELi1ESS_ST_ST_Li2ELi8ELi8ELb0ELi1ELi1ELi1ENSH_IJLi1ELi32ELi1ELi8EEEELi4EEEDF16_DF16_S4_S4_S4_NS6_INS7_IJSD_SF_SF_NS_7UnMergeINS7_IJiNSA_IiLi8EEEEEELb0EEESF_EEENS7_IJSI_SJ_SK_SO_SN_EEENS7_IJSM_SN_SO_NSH_IJLi5ELi6EEEENSH_IJLi7EEEEEEENSH_IJLi5ELi7ELi6EEEElEES16_NS6_INS7_IJSD_SF_SF_NSW_INS7_IJiNSA_IiLi256EEEEEELb0EEENSW_INS7_IJiNSA_IiLi128EEEEEELb0EEEEEENS7_IJSI_SJ_SK_SN_SO_EEENS7_IJSM_SN_SO_S12_NSH_IJLi7ELi8EEEEEEENSH_IJLi5ELi6ELi7ELi8EEEElEENS_13TensorAdaptorINS7_IJNSW_ISC_Lb0EEES1K_NS_23Merge_v2_magic_divisionINS7_IJiiSB_SB_EEEEEEEENS7_IJSI_SJ_NSH_IJLi2ELi3ELi4ELi5EEEEEEENS7_IJNSH_IJLi2ELi4EEEENSH_IJLi3ELi5EEEENSH_IJLi6EEEEEEENSH_IJLi0ELi1EEEES1T_EELb1EEEvPKT0_S1Z_PT1_T2_T3_T4_T5_T6_T7_T8_: ; @_ZN2ck37kernel_gemm_xdl_waveletmodel_cshuffleINS_53GridwiseGemm_k0mk1_k0nk1_mn_xdl_waveletmodel_cshuffleIDF16_fDF16_DF16_NS_16tensor_operation12element_wise11PassThroughES4_S4_LNS_25InMemoryDataOperationEnumE0ENS_16TensorDescriptorINS_5TupleIJNS_5EmbedINS7_IJiiEEENS7_IJiNS_17integral_constantIiLi1EEEEEELb0EEENS_11PassThroughIiEESF_EEENS7_IJNS_8SequenceIJLi0EEEENSH_IJLi1EEEENSH_IJLi2EEEEEEENS7_IJNSH_IJLi1ELi2EEEENSH_IJLi3EEEENSH_IJLi4EEEEEEENSH_IJLi3ELi4EEEElEESR_SR_Li1ELi256ELi256ELi256ELi128ELi32ELi8ELi8ELi16ELi16ELi8ELi4ENSH_IJLi4ELi64ELi1EEEENSH_IJLi1ELi0ELi2EEEEST_Li2ELi8ELi8ELb0ELi1ESS_ST_ST_Li2ELi8ELi8ELb0ELi1ELi1ELi1ENSH_IJLi1ELi32ELi1ELi8EEEELi4EEEDF16_DF16_S4_S4_S4_NS6_INS7_IJSD_SF_SF_NS_7UnMergeINS7_IJiNSA_IiLi8EEEEEELb0EEESF_EEENS7_IJSI_SJ_SK_SO_SN_EEENS7_IJSM_SN_SO_NSH_IJLi5ELi6EEEENSH_IJLi7EEEEEEENSH_IJLi5ELi7ELi6EEEElEES16_NS6_INS7_IJSD_SF_SF_NSW_INS7_IJiNSA_IiLi256EEEEEELb0EEENSW_INS7_IJiNSA_IiLi128EEEEEELb0EEEEEENS7_IJSI_SJ_SK_SN_SO_EEENS7_IJSM_SN_SO_S12_NSH_IJLi7ELi8EEEEEEENSH_IJLi5ELi6ELi7ELi8EEEElEENS_13TensorAdaptorINS7_IJNSW_ISC_Lb0EEES1K_NS_23Merge_v2_magic_divisionINS7_IJiiSB_SB_EEEEEEEENS7_IJSI_SJ_NSH_IJLi2ELi3ELi4ELi5EEEEEEENS7_IJNSH_IJLi2ELi4EEEENSH_IJLi3ELi5EEEENSH_IJLi6EEEEEEENSH_IJLi0ELi1EEEES1T_EELb1EEEvPKT0_S1Z_PT1_T2_T3_T4_T5_T6_T7_T8_
; %bb.0:
	s_endpgm
	.section	.rodata,"a",@progbits
	.p2align	6, 0x0
	.amdhsa_kernel _ZN2ck37kernel_gemm_xdl_waveletmodel_cshuffleINS_53GridwiseGemm_k0mk1_k0nk1_mn_xdl_waveletmodel_cshuffleIDF16_fDF16_DF16_NS_16tensor_operation12element_wise11PassThroughES4_S4_LNS_25InMemoryDataOperationEnumE0ENS_16TensorDescriptorINS_5TupleIJNS_5EmbedINS7_IJiiEEENS7_IJiNS_17integral_constantIiLi1EEEEEELb0EEENS_11PassThroughIiEESF_EEENS7_IJNS_8SequenceIJLi0EEEENSH_IJLi1EEEENSH_IJLi2EEEEEEENS7_IJNSH_IJLi1ELi2EEEENSH_IJLi3EEEENSH_IJLi4EEEEEEENSH_IJLi3ELi4EEEElEESR_SR_Li1ELi256ELi256ELi256ELi128ELi32ELi8ELi8ELi16ELi16ELi8ELi4ENSH_IJLi4ELi64ELi1EEEENSH_IJLi1ELi0ELi2EEEEST_Li2ELi8ELi8ELb0ELi1ESS_ST_ST_Li2ELi8ELi8ELb0ELi1ELi1ELi1ENSH_IJLi1ELi32ELi1ELi8EEEELi4EEEDF16_DF16_S4_S4_S4_NS6_INS7_IJSD_SF_SF_NS_7UnMergeINS7_IJiNSA_IiLi8EEEEEELb0EEESF_EEENS7_IJSI_SJ_SK_SO_SN_EEENS7_IJSM_SN_SO_NSH_IJLi5ELi6EEEENSH_IJLi7EEEEEEENSH_IJLi5ELi7ELi6EEEElEES16_NS6_INS7_IJSD_SF_SF_NSW_INS7_IJiNSA_IiLi256EEEEEELb0EEENSW_INS7_IJiNSA_IiLi128EEEEEELb0EEEEEENS7_IJSI_SJ_SK_SN_SO_EEENS7_IJSM_SN_SO_S12_NSH_IJLi7ELi8EEEEEEENSH_IJLi5ELi6ELi7ELi8EEEElEENS_13TensorAdaptorINS7_IJNSW_ISC_Lb0EEES1K_NS_23Merge_v2_magic_divisionINS7_IJiiSB_SB_EEEEEEEENS7_IJSI_SJ_NSH_IJLi2ELi3ELi4ELi5EEEEEEENS7_IJNSH_IJLi2ELi4EEEENSH_IJLi3ELi5EEEENSH_IJLi6EEEEEEENSH_IJLi0ELi1EEEES1T_EELb1EEEvPKT0_S1Z_PT1_T2_T3_T4_T5_T6_T7_T8_
		.amdhsa_group_segment_fixed_size 0
		.amdhsa_private_segment_fixed_size 0
		.amdhsa_kernarg_size 276
		.amdhsa_user_sgpr_count 15
		.amdhsa_user_sgpr_dispatch_ptr 0
		.amdhsa_user_sgpr_queue_ptr 0
		.amdhsa_user_sgpr_kernarg_segment_ptr 1
		.amdhsa_user_sgpr_dispatch_id 0
		.amdhsa_user_sgpr_private_segment_size 0
		.amdhsa_wavefront_size32 1
		.amdhsa_uses_dynamic_stack 0
		.amdhsa_enable_private_segment 0
		.amdhsa_system_sgpr_workgroup_id_x 1
		.amdhsa_system_sgpr_workgroup_id_y 0
		.amdhsa_system_sgpr_workgroup_id_z 0
		.amdhsa_system_sgpr_workgroup_info 0
		.amdhsa_system_vgpr_workitem_id 0
		.amdhsa_next_free_vgpr 1
		.amdhsa_next_free_sgpr 1
		.amdhsa_reserve_vcc 0
		.amdhsa_float_round_mode_32 0
		.amdhsa_float_round_mode_16_64 0
		.amdhsa_float_denorm_mode_32 3
		.amdhsa_float_denorm_mode_16_64 3
		.amdhsa_dx10_clamp 1
		.amdhsa_ieee_mode 1
		.amdhsa_fp16_overflow 0
		.amdhsa_workgroup_processor_mode 1
		.amdhsa_memory_ordered 1
		.amdhsa_forward_progress 0
		.amdhsa_shared_vgpr_count 0
		.amdhsa_exception_fp_ieee_invalid_op 0
		.amdhsa_exception_fp_denorm_src 0
		.amdhsa_exception_fp_ieee_div_zero 0
		.amdhsa_exception_fp_ieee_overflow 0
		.amdhsa_exception_fp_ieee_underflow 0
		.amdhsa_exception_fp_ieee_inexact 0
		.amdhsa_exception_int_div_zero 0
	.end_amdhsa_kernel
	.section	.text._ZN2ck37kernel_gemm_xdl_waveletmodel_cshuffleINS_53GridwiseGemm_k0mk1_k0nk1_mn_xdl_waveletmodel_cshuffleIDF16_fDF16_DF16_NS_16tensor_operation12element_wise11PassThroughES4_S4_LNS_25InMemoryDataOperationEnumE0ENS_16TensorDescriptorINS_5TupleIJNS_5EmbedINS7_IJiiEEENS7_IJiNS_17integral_constantIiLi1EEEEEELb0EEENS_11PassThroughIiEESF_EEENS7_IJNS_8SequenceIJLi0EEEENSH_IJLi1EEEENSH_IJLi2EEEEEEENS7_IJNSH_IJLi1ELi2EEEENSH_IJLi3EEEENSH_IJLi4EEEEEEENSH_IJLi3ELi4EEEElEESR_SR_Li1ELi256ELi256ELi256ELi128ELi32ELi8ELi8ELi16ELi16ELi8ELi4ENSH_IJLi4ELi64ELi1EEEENSH_IJLi1ELi0ELi2EEEEST_Li2ELi8ELi8ELb0ELi1ESS_ST_ST_Li2ELi8ELi8ELb0ELi1ELi1ELi1ENSH_IJLi1ELi32ELi1ELi8EEEELi4EEEDF16_DF16_S4_S4_S4_NS6_INS7_IJSD_SF_SF_NS_7UnMergeINS7_IJiNSA_IiLi8EEEEEELb0EEESF_EEENS7_IJSI_SJ_SK_SO_SN_EEENS7_IJSM_SN_SO_NSH_IJLi5ELi6EEEENSH_IJLi7EEEEEEENSH_IJLi5ELi7ELi6EEEElEES16_NS6_INS7_IJSD_SF_SF_NSW_INS7_IJiNSA_IiLi256EEEEEELb0EEENSW_INS7_IJiNSA_IiLi128EEEEEELb0EEEEEENS7_IJSI_SJ_SK_SN_SO_EEENS7_IJSM_SN_SO_S12_NSH_IJLi7ELi8EEEEEEENSH_IJLi5ELi6ELi7ELi8EEEElEENS_13TensorAdaptorINS7_IJNSW_ISC_Lb0EEES1K_NS_23Merge_v2_magic_divisionINS7_IJiiSB_SB_EEEEEEEENS7_IJSI_SJ_NSH_IJLi2ELi3ELi4ELi5EEEEEEENS7_IJNSH_IJLi2ELi4EEEENSH_IJLi3ELi5EEEENSH_IJLi6EEEEEEENSH_IJLi0ELi1EEEES1T_EELb1EEEvPKT0_S1Z_PT1_T2_T3_T4_T5_T6_T7_T8_,"axG",@progbits,_ZN2ck37kernel_gemm_xdl_waveletmodel_cshuffleINS_53GridwiseGemm_k0mk1_k0nk1_mn_xdl_waveletmodel_cshuffleIDF16_fDF16_DF16_NS_16tensor_operation12element_wise11PassThroughES4_S4_LNS_25InMemoryDataOperationEnumE0ENS_16TensorDescriptorINS_5TupleIJNS_5EmbedINS7_IJiiEEENS7_IJiNS_17integral_constantIiLi1EEEEEELb0EEENS_11PassThroughIiEESF_EEENS7_IJNS_8SequenceIJLi0EEEENSH_IJLi1EEEENSH_IJLi2EEEEEEENS7_IJNSH_IJLi1ELi2EEEENSH_IJLi3EEEENSH_IJLi4EEEEEEENSH_IJLi3ELi4EEEElEESR_SR_Li1ELi256ELi256ELi256ELi128ELi32ELi8ELi8ELi16ELi16ELi8ELi4ENSH_IJLi4ELi64ELi1EEEENSH_IJLi1ELi0ELi2EEEEST_Li2ELi8ELi8ELb0ELi1ESS_ST_ST_Li2ELi8ELi8ELb0ELi1ELi1ELi1ENSH_IJLi1ELi32ELi1ELi8EEEELi4EEEDF16_DF16_S4_S4_S4_NS6_INS7_IJSD_SF_SF_NS_7UnMergeINS7_IJiNSA_IiLi8EEEEEELb0EEESF_EEENS7_IJSI_SJ_SK_SO_SN_EEENS7_IJSM_SN_SO_NSH_IJLi5ELi6EEEENSH_IJLi7EEEEEEENSH_IJLi5ELi7ELi6EEEElEES16_NS6_INS7_IJSD_SF_SF_NSW_INS7_IJiNSA_IiLi256EEEEEELb0EEENSW_INS7_IJiNSA_IiLi128EEEEEELb0EEEEEENS7_IJSI_SJ_SK_SN_SO_EEENS7_IJSM_SN_SO_S12_NSH_IJLi7ELi8EEEEEEENSH_IJLi5ELi6ELi7ELi8EEEElEENS_13TensorAdaptorINS7_IJNSW_ISC_Lb0EEES1K_NS_23Merge_v2_magic_divisionINS7_IJiiSB_SB_EEEEEEEENS7_IJSI_SJ_NSH_IJLi2ELi3ELi4ELi5EEEEEEENS7_IJNSH_IJLi2ELi4EEEENSH_IJLi3ELi5EEEENSH_IJLi6EEEEEEENSH_IJLi0ELi1EEEES1T_EELb1EEEvPKT0_S1Z_PT1_T2_T3_T4_T5_T6_T7_T8_,comdat
.Lfunc_end1:
	.size	_ZN2ck37kernel_gemm_xdl_waveletmodel_cshuffleINS_53GridwiseGemm_k0mk1_k0nk1_mn_xdl_waveletmodel_cshuffleIDF16_fDF16_DF16_NS_16tensor_operation12element_wise11PassThroughES4_S4_LNS_25InMemoryDataOperationEnumE0ENS_16TensorDescriptorINS_5TupleIJNS_5EmbedINS7_IJiiEEENS7_IJiNS_17integral_constantIiLi1EEEEEELb0EEENS_11PassThroughIiEESF_EEENS7_IJNS_8SequenceIJLi0EEEENSH_IJLi1EEEENSH_IJLi2EEEEEEENS7_IJNSH_IJLi1ELi2EEEENSH_IJLi3EEEENSH_IJLi4EEEEEEENSH_IJLi3ELi4EEEElEESR_SR_Li1ELi256ELi256ELi256ELi128ELi32ELi8ELi8ELi16ELi16ELi8ELi4ENSH_IJLi4ELi64ELi1EEEENSH_IJLi1ELi0ELi2EEEEST_Li2ELi8ELi8ELb0ELi1ESS_ST_ST_Li2ELi8ELi8ELb0ELi1ELi1ELi1ENSH_IJLi1ELi32ELi1ELi8EEEELi4EEEDF16_DF16_S4_S4_S4_NS6_INS7_IJSD_SF_SF_NS_7UnMergeINS7_IJiNSA_IiLi8EEEEEELb0EEESF_EEENS7_IJSI_SJ_SK_SO_SN_EEENS7_IJSM_SN_SO_NSH_IJLi5ELi6EEEENSH_IJLi7EEEEEEENSH_IJLi5ELi7ELi6EEEElEES16_NS6_INS7_IJSD_SF_SF_NSW_INS7_IJiNSA_IiLi256EEEEEELb0EEENSW_INS7_IJiNSA_IiLi128EEEEEELb0EEEEEENS7_IJSI_SJ_SK_SN_SO_EEENS7_IJSM_SN_SO_S12_NSH_IJLi7ELi8EEEEEEENSH_IJLi5ELi6ELi7ELi8EEEElEENS_13TensorAdaptorINS7_IJNSW_ISC_Lb0EEES1K_NS_23Merge_v2_magic_divisionINS7_IJiiSB_SB_EEEEEEEENS7_IJSI_SJ_NSH_IJLi2ELi3ELi4ELi5EEEEEEENS7_IJNSH_IJLi2ELi4EEEENSH_IJLi3ELi5EEEENSH_IJLi6EEEEEEENSH_IJLi0ELi1EEEES1T_EELb1EEEvPKT0_S1Z_PT1_T2_T3_T4_T5_T6_T7_T8_, .Lfunc_end1-_ZN2ck37kernel_gemm_xdl_waveletmodel_cshuffleINS_53GridwiseGemm_k0mk1_k0nk1_mn_xdl_waveletmodel_cshuffleIDF16_fDF16_DF16_NS_16tensor_operation12element_wise11PassThroughES4_S4_LNS_25InMemoryDataOperationEnumE0ENS_16TensorDescriptorINS_5TupleIJNS_5EmbedINS7_IJiiEEENS7_IJiNS_17integral_constantIiLi1EEEEEELb0EEENS_11PassThroughIiEESF_EEENS7_IJNS_8SequenceIJLi0EEEENSH_IJLi1EEEENSH_IJLi2EEEEEEENS7_IJNSH_IJLi1ELi2EEEENSH_IJLi3EEEENSH_IJLi4EEEEEEENSH_IJLi3ELi4EEEElEESR_SR_Li1ELi256ELi256ELi256ELi128ELi32ELi8ELi8ELi16ELi16ELi8ELi4ENSH_IJLi4ELi64ELi1EEEENSH_IJLi1ELi0ELi2EEEEST_Li2ELi8ELi8ELb0ELi1ESS_ST_ST_Li2ELi8ELi8ELb0ELi1ELi1ELi1ENSH_IJLi1ELi32ELi1ELi8EEEELi4EEEDF16_DF16_S4_S4_S4_NS6_INS7_IJSD_SF_SF_NS_7UnMergeINS7_IJiNSA_IiLi8EEEEEELb0EEESF_EEENS7_IJSI_SJ_SK_SO_SN_EEENS7_IJSM_SN_SO_NSH_IJLi5ELi6EEEENSH_IJLi7EEEEEEENSH_IJLi5ELi7ELi6EEEElEES16_NS6_INS7_IJSD_SF_SF_NSW_INS7_IJiNSA_IiLi256EEEEEELb0EEENSW_INS7_IJiNSA_IiLi128EEEEEELb0EEEEEENS7_IJSI_SJ_SK_SN_SO_EEENS7_IJSM_SN_SO_S12_NSH_IJLi7ELi8EEEEEEENSH_IJLi5ELi6ELi7ELi8EEEElEENS_13TensorAdaptorINS7_IJNSW_ISC_Lb0EEES1K_NS_23Merge_v2_magic_divisionINS7_IJiiSB_SB_EEEEEEEENS7_IJSI_SJ_NSH_IJLi2ELi3ELi4ELi5EEEEEEENS7_IJNSH_IJLi2ELi4EEEENSH_IJLi3ELi5EEEENSH_IJLi6EEEEEEENSH_IJLi0ELi1EEEES1T_EELb1EEEvPKT0_S1Z_PT1_T2_T3_T4_T5_T6_T7_T8_
                                        ; -- End function
	.section	.AMDGPU.csdata,"",@progbits
; Kernel info:
; codeLenInByte = 4
; NumSgprs: 0
; NumVgprs: 0
; ScratchSize: 0
; MemoryBound: 0
; FloatMode: 240
; IeeeMode: 1
; LDSByteSize: 0 bytes/workgroup (compile time only)
; SGPRBlocks: 0
; VGPRBlocks: 0
; NumSGPRsForWavesPerEU: 1
; NumVGPRsForWavesPerEU: 1
; Occupancy: 16
; WaveLimiterHint : 0
; COMPUTE_PGM_RSRC2:SCRATCH_EN: 0
; COMPUTE_PGM_RSRC2:USER_SGPR: 15
; COMPUTE_PGM_RSRC2:TRAP_HANDLER: 0
; COMPUTE_PGM_RSRC2:TGID_X_EN: 1
; COMPUTE_PGM_RSRC2:TGID_Y_EN: 0
; COMPUTE_PGM_RSRC2:TGID_Z_EN: 0
; COMPUTE_PGM_RSRC2:TIDIG_COMP_CNT: 0
	.section	.text._ZN2ck37kernel_gemm_xdl_waveletmodel_cshuffleINS_53GridwiseGemm_k0mk1_k0nk1_mn_xdl_waveletmodel_cshuffleIDF16_fDF16_DF16_NS_16tensor_operation12element_wise11PassThroughES4_S4_LNS_25InMemoryDataOperationEnumE0ENS_16TensorDescriptorINS_5TupleIJNS_5EmbedINS7_IJiiEEENS7_IJiNS_17integral_constantIiLi1EEEEEELb0EEENS_11PassThroughIiEESF_EEENS7_IJNS_8SequenceIJLi0EEEENSH_IJLi1EEEENSH_IJLi2EEEEEEENS7_IJNSH_IJLi1ELi2EEEENSH_IJLi3EEEENSH_IJLi4EEEEEEENSH_IJLi3ELi4EEEElEESR_SR_Li1ELi256ELi256ELi256ELi128ELi32ELi8ELi8ELi16ELi16ELi8ELi4ENSH_IJLi4ELi64ELi1EEEENSH_IJLi1ELi0ELi2EEEEST_Li2ELi8ELi8ELb0ELi1ESS_ST_ST_Li2ELi8ELi8ELb0ELi1ELi1ELi1ENSH_IJLi1ELi32ELi1ELi8EEEELi4EEEDF16_DF16_S4_S4_S4_NS6_INS7_IJSD_SF_SF_NS_7UnMergeINS7_IJiNSA_IiLi8EEEEEELb0EEESF_EEENS7_IJSI_SJ_SK_SO_SN_EEENS7_IJSM_SN_SO_NSH_IJLi5ELi6EEEENSH_IJLi7EEEEEEENSH_IJLi5ELi7ELi6EEEElEES16_NS6_INS7_IJSD_SF_SF_NSW_INS7_IJiNSA_IiLi256EEEEEELb0EEENSW_INS7_IJiNSA_IiLi128EEEEEELb0EEEEEENS7_IJSI_SJ_SK_SN_SO_EEENS7_IJSM_SN_SO_S12_NSH_IJLi7ELi8EEEEEEENSH_IJLi5ELi6ELi7ELi8EEEElEENS_13TensorAdaptorINS7_IJNSW_ISC_Lb0EEES1K_NS_23Merge_v2_magic_divisionINS7_IJiiSB_SB_EEEEEEEENS7_IJSI_SJ_NSH_IJLi2ELi3ELi4ELi5EEEEEEENS7_IJNSH_IJLi2ELi4EEEENSH_IJLi3ELi5EEEENSH_IJLi6EEEEEEENSH_IJLi0ELi1EEEES1T_EELb0EEEvPKT0_S1Z_PT1_T2_T3_T4_T5_T6_T7_T8_,"axG",@progbits,_ZN2ck37kernel_gemm_xdl_waveletmodel_cshuffleINS_53GridwiseGemm_k0mk1_k0nk1_mn_xdl_waveletmodel_cshuffleIDF16_fDF16_DF16_NS_16tensor_operation12element_wise11PassThroughES4_S4_LNS_25InMemoryDataOperationEnumE0ENS_16TensorDescriptorINS_5TupleIJNS_5EmbedINS7_IJiiEEENS7_IJiNS_17integral_constantIiLi1EEEEEELb0EEENS_11PassThroughIiEESF_EEENS7_IJNS_8SequenceIJLi0EEEENSH_IJLi1EEEENSH_IJLi2EEEEEEENS7_IJNSH_IJLi1ELi2EEEENSH_IJLi3EEEENSH_IJLi4EEEEEEENSH_IJLi3ELi4EEEElEESR_SR_Li1ELi256ELi256ELi256ELi128ELi32ELi8ELi8ELi16ELi16ELi8ELi4ENSH_IJLi4ELi64ELi1EEEENSH_IJLi1ELi0ELi2EEEEST_Li2ELi8ELi8ELb0ELi1ESS_ST_ST_Li2ELi8ELi8ELb0ELi1ELi1ELi1ENSH_IJLi1ELi32ELi1ELi8EEEELi4EEEDF16_DF16_S4_S4_S4_NS6_INS7_IJSD_SF_SF_NS_7UnMergeINS7_IJiNSA_IiLi8EEEEEELb0EEESF_EEENS7_IJSI_SJ_SK_SO_SN_EEENS7_IJSM_SN_SO_NSH_IJLi5ELi6EEEENSH_IJLi7EEEEEEENSH_IJLi5ELi7ELi6EEEElEES16_NS6_INS7_IJSD_SF_SF_NSW_INS7_IJiNSA_IiLi256EEEEEELb0EEENSW_INS7_IJiNSA_IiLi128EEEEEELb0EEEEEENS7_IJSI_SJ_SK_SN_SO_EEENS7_IJSM_SN_SO_S12_NSH_IJLi7ELi8EEEEEEENSH_IJLi5ELi6ELi7ELi8EEEElEENS_13TensorAdaptorINS7_IJNSW_ISC_Lb0EEES1K_NS_23Merge_v2_magic_divisionINS7_IJiiSB_SB_EEEEEEEENS7_IJSI_SJ_NSH_IJLi2ELi3ELi4ELi5EEEEEEENS7_IJNSH_IJLi2ELi4EEEENSH_IJLi3ELi5EEEENSH_IJLi6EEEEEEENSH_IJLi0ELi1EEEES1T_EELb0EEEvPKT0_S1Z_PT1_T2_T3_T4_T5_T6_T7_T8_,comdat
	.protected	_ZN2ck37kernel_gemm_xdl_waveletmodel_cshuffleINS_53GridwiseGemm_k0mk1_k0nk1_mn_xdl_waveletmodel_cshuffleIDF16_fDF16_DF16_NS_16tensor_operation12element_wise11PassThroughES4_S4_LNS_25InMemoryDataOperationEnumE0ENS_16TensorDescriptorINS_5TupleIJNS_5EmbedINS7_IJiiEEENS7_IJiNS_17integral_constantIiLi1EEEEEELb0EEENS_11PassThroughIiEESF_EEENS7_IJNS_8SequenceIJLi0EEEENSH_IJLi1EEEENSH_IJLi2EEEEEEENS7_IJNSH_IJLi1ELi2EEEENSH_IJLi3EEEENSH_IJLi4EEEEEEENSH_IJLi3ELi4EEEElEESR_SR_Li1ELi256ELi256ELi256ELi128ELi32ELi8ELi8ELi16ELi16ELi8ELi4ENSH_IJLi4ELi64ELi1EEEENSH_IJLi1ELi0ELi2EEEEST_Li2ELi8ELi8ELb0ELi1ESS_ST_ST_Li2ELi8ELi8ELb0ELi1ELi1ELi1ENSH_IJLi1ELi32ELi1ELi8EEEELi4EEEDF16_DF16_S4_S4_S4_NS6_INS7_IJSD_SF_SF_NS_7UnMergeINS7_IJiNSA_IiLi8EEEEEELb0EEESF_EEENS7_IJSI_SJ_SK_SO_SN_EEENS7_IJSM_SN_SO_NSH_IJLi5ELi6EEEENSH_IJLi7EEEEEEENSH_IJLi5ELi7ELi6EEEElEES16_NS6_INS7_IJSD_SF_SF_NSW_INS7_IJiNSA_IiLi256EEEEEELb0EEENSW_INS7_IJiNSA_IiLi128EEEEEELb0EEEEEENS7_IJSI_SJ_SK_SN_SO_EEENS7_IJSM_SN_SO_S12_NSH_IJLi7ELi8EEEEEEENSH_IJLi5ELi6ELi7ELi8EEEElEENS_13TensorAdaptorINS7_IJNSW_ISC_Lb0EEES1K_NS_23Merge_v2_magic_divisionINS7_IJiiSB_SB_EEEEEEEENS7_IJSI_SJ_NSH_IJLi2ELi3ELi4ELi5EEEEEEENS7_IJNSH_IJLi2ELi4EEEENSH_IJLi3ELi5EEEENSH_IJLi6EEEEEEENSH_IJLi0ELi1EEEES1T_EELb0EEEvPKT0_S1Z_PT1_T2_T3_T4_T5_T6_T7_T8_ ; -- Begin function _ZN2ck37kernel_gemm_xdl_waveletmodel_cshuffleINS_53GridwiseGemm_k0mk1_k0nk1_mn_xdl_waveletmodel_cshuffleIDF16_fDF16_DF16_NS_16tensor_operation12element_wise11PassThroughES4_S4_LNS_25InMemoryDataOperationEnumE0ENS_16TensorDescriptorINS_5TupleIJNS_5EmbedINS7_IJiiEEENS7_IJiNS_17integral_constantIiLi1EEEEEELb0EEENS_11PassThroughIiEESF_EEENS7_IJNS_8SequenceIJLi0EEEENSH_IJLi1EEEENSH_IJLi2EEEEEEENS7_IJNSH_IJLi1ELi2EEEENSH_IJLi3EEEENSH_IJLi4EEEEEEENSH_IJLi3ELi4EEEElEESR_SR_Li1ELi256ELi256ELi256ELi128ELi32ELi8ELi8ELi16ELi16ELi8ELi4ENSH_IJLi4ELi64ELi1EEEENSH_IJLi1ELi0ELi2EEEEST_Li2ELi8ELi8ELb0ELi1ESS_ST_ST_Li2ELi8ELi8ELb0ELi1ELi1ELi1ENSH_IJLi1ELi32ELi1ELi8EEEELi4EEEDF16_DF16_S4_S4_S4_NS6_INS7_IJSD_SF_SF_NS_7UnMergeINS7_IJiNSA_IiLi8EEEEEELb0EEESF_EEENS7_IJSI_SJ_SK_SO_SN_EEENS7_IJSM_SN_SO_NSH_IJLi5ELi6EEEENSH_IJLi7EEEEEEENSH_IJLi5ELi7ELi6EEEElEES16_NS6_INS7_IJSD_SF_SF_NSW_INS7_IJiNSA_IiLi256EEEEEELb0EEENSW_INS7_IJiNSA_IiLi128EEEEEELb0EEEEEENS7_IJSI_SJ_SK_SN_SO_EEENS7_IJSM_SN_SO_S12_NSH_IJLi7ELi8EEEEEEENSH_IJLi5ELi6ELi7ELi8EEEElEENS_13TensorAdaptorINS7_IJNSW_ISC_Lb0EEES1K_NS_23Merge_v2_magic_divisionINS7_IJiiSB_SB_EEEEEEEENS7_IJSI_SJ_NSH_IJLi2ELi3ELi4ELi5EEEEEEENS7_IJNSH_IJLi2ELi4EEEENSH_IJLi3ELi5EEEENSH_IJLi6EEEEEEENSH_IJLi0ELi1EEEES1T_EELb0EEEvPKT0_S1Z_PT1_T2_T3_T4_T5_T6_T7_T8_
	.globl	_ZN2ck37kernel_gemm_xdl_waveletmodel_cshuffleINS_53GridwiseGemm_k0mk1_k0nk1_mn_xdl_waveletmodel_cshuffleIDF16_fDF16_DF16_NS_16tensor_operation12element_wise11PassThroughES4_S4_LNS_25InMemoryDataOperationEnumE0ENS_16TensorDescriptorINS_5TupleIJNS_5EmbedINS7_IJiiEEENS7_IJiNS_17integral_constantIiLi1EEEEEELb0EEENS_11PassThroughIiEESF_EEENS7_IJNS_8SequenceIJLi0EEEENSH_IJLi1EEEENSH_IJLi2EEEEEEENS7_IJNSH_IJLi1ELi2EEEENSH_IJLi3EEEENSH_IJLi4EEEEEEENSH_IJLi3ELi4EEEElEESR_SR_Li1ELi256ELi256ELi256ELi128ELi32ELi8ELi8ELi16ELi16ELi8ELi4ENSH_IJLi4ELi64ELi1EEEENSH_IJLi1ELi0ELi2EEEEST_Li2ELi8ELi8ELb0ELi1ESS_ST_ST_Li2ELi8ELi8ELb0ELi1ELi1ELi1ENSH_IJLi1ELi32ELi1ELi8EEEELi4EEEDF16_DF16_S4_S4_S4_NS6_INS7_IJSD_SF_SF_NS_7UnMergeINS7_IJiNSA_IiLi8EEEEEELb0EEESF_EEENS7_IJSI_SJ_SK_SO_SN_EEENS7_IJSM_SN_SO_NSH_IJLi5ELi6EEEENSH_IJLi7EEEEEEENSH_IJLi5ELi7ELi6EEEElEES16_NS6_INS7_IJSD_SF_SF_NSW_INS7_IJiNSA_IiLi256EEEEEELb0EEENSW_INS7_IJiNSA_IiLi128EEEEEELb0EEEEEENS7_IJSI_SJ_SK_SN_SO_EEENS7_IJSM_SN_SO_S12_NSH_IJLi7ELi8EEEEEEENSH_IJLi5ELi6ELi7ELi8EEEElEENS_13TensorAdaptorINS7_IJNSW_ISC_Lb0EEES1K_NS_23Merge_v2_magic_divisionINS7_IJiiSB_SB_EEEEEEEENS7_IJSI_SJ_NSH_IJLi2ELi3ELi4ELi5EEEEEEENS7_IJNSH_IJLi2ELi4EEEENSH_IJLi3ELi5EEEENSH_IJLi6EEEEEEENSH_IJLi0ELi1EEEES1T_EELb0EEEvPKT0_S1Z_PT1_T2_T3_T4_T5_T6_T7_T8_
	.p2align	8
	.type	_ZN2ck37kernel_gemm_xdl_waveletmodel_cshuffleINS_53GridwiseGemm_k0mk1_k0nk1_mn_xdl_waveletmodel_cshuffleIDF16_fDF16_DF16_NS_16tensor_operation12element_wise11PassThroughES4_S4_LNS_25InMemoryDataOperationEnumE0ENS_16TensorDescriptorINS_5TupleIJNS_5EmbedINS7_IJiiEEENS7_IJiNS_17integral_constantIiLi1EEEEEELb0EEENS_11PassThroughIiEESF_EEENS7_IJNS_8SequenceIJLi0EEEENSH_IJLi1EEEENSH_IJLi2EEEEEEENS7_IJNSH_IJLi1ELi2EEEENSH_IJLi3EEEENSH_IJLi4EEEEEEENSH_IJLi3ELi4EEEElEESR_SR_Li1ELi256ELi256ELi256ELi128ELi32ELi8ELi8ELi16ELi16ELi8ELi4ENSH_IJLi4ELi64ELi1EEEENSH_IJLi1ELi0ELi2EEEEST_Li2ELi8ELi8ELb0ELi1ESS_ST_ST_Li2ELi8ELi8ELb0ELi1ELi1ELi1ENSH_IJLi1ELi32ELi1ELi8EEEELi4EEEDF16_DF16_S4_S4_S4_NS6_INS7_IJSD_SF_SF_NS_7UnMergeINS7_IJiNSA_IiLi8EEEEEELb0EEESF_EEENS7_IJSI_SJ_SK_SO_SN_EEENS7_IJSM_SN_SO_NSH_IJLi5ELi6EEEENSH_IJLi7EEEEEEENSH_IJLi5ELi7ELi6EEEElEES16_NS6_INS7_IJSD_SF_SF_NSW_INS7_IJiNSA_IiLi256EEEEEELb0EEENSW_INS7_IJiNSA_IiLi128EEEEEELb0EEEEEENS7_IJSI_SJ_SK_SN_SO_EEENS7_IJSM_SN_SO_S12_NSH_IJLi7ELi8EEEEEEENSH_IJLi5ELi6ELi7ELi8EEEElEENS_13TensorAdaptorINS7_IJNSW_ISC_Lb0EEES1K_NS_23Merge_v2_magic_divisionINS7_IJiiSB_SB_EEEEEEEENS7_IJSI_SJ_NSH_IJLi2ELi3ELi4ELi5EEEEEEENS7_IJNSH_IJLi2ELi4EEEENSH_IJLi3ELi5EEEENSH_IJLi6EEEEEEENSH_IJLi0ELi1EEEES1T_EELb0EEEvPKT0_S1Z_PT1_T2_T3_T4_T5_T6_T7_T8_,@function
_ZN2ck37kernel_gemm_xdl_waveletmodel_cshuffleINS_53GridwiseGemm_k0mk1_k0nk1_mn_xdl_waveletmodel_cshuffleIDF16_fDF16_DF16_NS_16tensor_operation12element_wise11PassThroughES4_S4_LNS_25InMemoryDataOperationEnumE0ENS_16TensorDescriptorINS_5TupleIJNS_5EmbedINS7_IJiiEEENS7_IJiNS_17integral_constantIiLi1EEEEEELb0EEENS_11PassThroughIiEESF_EEENS7_IJNS_8SequenceIJLi0EEEENSH_IJLi1EEEENSH_IJLi2EEEEEEENS7_IJNSH_IJLi1ELi2EEEENSH_IJLi3EEEENSH_IJLi4EEEEEEENSH_IJLi3ELi4EEEElEESR_SR_Li1ELi256ELi256ELi256ELi128ELi32ELi8ELi8ELi16ELi16ELi8ELi4ENSH_IJLi4ELi64ELi1EEEENSH_IJLi1ELi0ELi2EEEEST_Li2ELi8ELi8ELb0ELi1ESS_ST_ST_Li2ELi8ELi8ELb0ELi1ELi1ELi1ENSH_IJLi1ELi32ELi1ELi8EEEELi4EEEDF16_DF16_S4_S4_S4_NS6_INS7_IJSD_SF_SF_NS_7UnMergeINS7_IJiNSA_IiLi8EEEEEELb0EEESF_EEENS7_IJSI_SJ_SK_SO_SN_EEENS7_IJSM_SN_SO_NSH_IJLi5ELi6EEEENSH_IJLi7EEEEEEENSH_IJLi5ELi7ELi6EEEElEES16_NS6_INS7_IJSD_SF_SF_NSW_INS7_IJiNSA_IiLi256EEEEEELb0EEENSW_INS7_IJiNSA_IiLi128EEEEEELb0EEEEEENS7_IJSI_SJ_SK_SN_SO_EEENS7_IJSM_SN_SO_S12_NSH_IJLi7ELi8EEEEEEENSH_IJLi5ELi6ELi7ELi8EEEElEENS_13TensorAdaptorINS7_IJNSW_ISC_Lb0EEES1K_NS_23Merge_v2_magic_divisionINS7_IJiiSB_SB_EEEEEEEENS7_IJSI_SJ_NSH_IJLi2ELi3ELi4ELi5EEEEEEENS7_IJNSH_IJLi2ELi4EEEENSH_IJLi3ELi5EEEENSH_IJLi6EEEEEEENSH_IJLi0ELi1EEEES1T_EELb0EEEvPKT0_S1Z_PT1_T2_T3_T4_T5_T6_T7_T8_: ; @_ZN2ck37kernel_gemm_xdl_waveletmodel_cshuffleINS_53GridwiseGemm_k0mk1_k0nk1_mn_xdl_waveletmodel_cshuffleIDF16_fDF16_DF16_NS_16tensor_operation12element_wise11PassThroughES4_S4_LNS_25InMemoryDataOperationEnumE0ENS_16TensorDescriptorINS_5TupleIJNS_5EmbedINS7_IJiiEEENS7_IJiNS_17integral_constantIiLi1EEEEEELb0EEENS_11PassThroughIiEESF_EEENS7_IJNS_8SequenceIJLi0EEEENSH_IJLi1EEEENSH_IJLi2EEEEEEENS7_IJNSH_IJLi1ELi2EEEENSH_IJLi3EEEENSH_IJLi4EEEEEEENSH_IJLi3ELi4EEEElEESR_SR_Li1ELi256ELi256ELi256ELi128ELi32ELi8ELi8ELi16ELi16ELi8ELi4ENSH_IJLi4ELi64ELi1EEEENSH_IJLi1ELi0ELi2EEEEST_Li2ELi8ELi8ELb0ELi1ESS_ST_ST_Li2ELi8ELi8ELb0ELi1ELi1ELi1ENSH_IJLi1ELi32ELi1ELi8EEEELi4EEEDF16_DF16_S4_S4_S4_NS6_INS7_IJSD_SF_SF_NS_7UnMergeINS7_IJiNSA_IiLi8EEEEEELb0EEESF_EEENS7_IJSI_SJ_SK_SO_SN_EEENS7_IJSM_SN_SO_NSH_IJLi5ELi6EEEENSH_IJLi7EEEEEEENSH_IJLi5ELi7ELi6EEEElEES16_NS6_INS7_IJSD_SF_SF_NSW_INS7_IJiNSA_IiLi256EEEEEELb0EEENSW_INS7_IJiNSA_IiLi128EEEEEELb0EEEEEENS7_IJSI_SJ_SK_SN_SO_EEENS7_IJSM_SN_SO_S12_NSH_IJLi7ELi8EEEEEEENSH_IJLi5ELi6ELi7ELi8EEEElEENS_13TensorAdaptorINS7_IJNSW_ISC_Lb0EEES1K_NS_23Merge_v2_magic_divisionINS7_IJiiSB_SB_EEEEEEEENS7_IJSI_SJ_NSH_IJLi2ELi3ELi4ELi5EEEEEEENS7_IJNSH_IJLi2ELi4EEEENSH_IJLi3ELi5EEEENSH_IJLi6EEEEEEENSH_IJLi0ELi1EEEES1T_EELb0EEEvPKT0_S1Z_PT1_T2_T3_T4_T5_T6_T7_T8_
; %bb.0:
	s_endpgm
	.section	.rodata,"a",@progbits
	.p2align	6, 0x0
	.amdhsa_kernel _ZN2ck37kernel_gemm_xdl_waveletmodel_cshuffleINS_53GridwiseGemm_k0mk1_k0nk1_mn_xdl_waveletmodel_cshuffleIDF16_fDF16_DF16_NS_16tensor_operation12element_wise11PassThroughES4_S4_LNS_25InMemoryDataOperationEnumE0ENS_16TensorDescriptorINS_5TupleIJNS_5EmbedINS7_IJiiEEENS7_IJiNS_17integral_constantIiLi1EEEEEELb0EEENS_11PassThroughIiEESF_EEENS7_IJNS_8SequenceIJLi0EEEENSH_IJLi1EEEENSH_IJLi2EEEEEEENS7_IJNSH_IJLi1ELi2EEEENSH_IJLi3EEEENSH_IJLi4EEEEEEENSH_IJLi3ELi4EEEElEESR_SR_Li1ELi256ELi256ELi256ELi128ELi32ELi8ELi8ELi16ELi16ELi8ELi4ENSH_IJLi4ELi64ELi1EEEENSH_IJLi1ELi0ELi2EEEEST_Li2ELi8ELi8ELb0ELi1ESS_ST_ST_Li2ELi8ELi8ELb0ELi1ELi1ELi1ENSH_IJLi1ELi32ELi1ELi8EEEELi4EEEDF16_DF16_S4_S4_S4_NS6_INS7_IJSD_SF_SF_NS_7UnMergeINS7_IJiNSA_IiLi8EEEEEELb0EEESF_EEENS7_IJSI_SJ_SK_SO_SN_EEENS7_IJSM_SN_SO_NSH_IJLi5ELi6EEEENSH_IJLi7EEEEEEENSH_IJLi5ELi7ELi6EEEElEES16_NS6_INS7_IJSD_SF_SF_NSW_INS7_IJiNSA_IiLi256EEEEEELb0EEENSW_INS7_IJiNSA_IiLi128EEEEEELb0EEEEEENS7_IJSI_SJ_SK_SN_SO_EEENS7_IJSM_SN_SO_S12_NSH_IJLi7ELi8EEEEEEENSH_IJLi5ELi6ELi7ELi8EEEElEENS_13TensorAdaptorINS7_IJNSW_ISC_Lb0EEES1K_NS_23Merge_v2_magic_divisionINS7_IJiiSB_SB_EEEEEEEENS7_IJSI_SJ_NSH_IJLi2ELi3ELi4ELi5EEEEEEENS7_IJNSH_IJLi2ELi4EEEENSH_IJLi3ELi5EEEENSH_IJLi6EEEEEEENSH_IJLi0ELi1EEEES1T_EELb0EEEvPKT0_S1Z_PT1_T2_T3_T4_T5_T6_T7_T8_
		.amdhsa_group_segment_fixed_size 0
		.amdhsa_private_segment_fixed_size 0
		.amdhsa_kernarg_size 276
		.amdhsa_user_sgpr_count 15
		.amdhsa_user_sgpr_dispatch_ptr 0
		.amdhsa_user_sgpr_queue_ptr 0
		.amdhsa_user_sgpr_kernarg_segment_ptr 1
		.amdhsa_user_sgpr_dispatch_id 0
		.amdhsa_user_sgpr_private_segment_size 0
		.amdhsa_wavefront_size32 1
		.amdhsa_uses_dynamic_stack 0
		.amdhsa_enable_private_segment 0
		.amdhsa_system_sgpr_workgroup_id_x 1
		.amdhsa_system_sgpr_workgroup_id_y 0
		.amdhsa_system_sgpr_workgroup_id_z 0
		.amdhsa_system_sgpr_workgroup_info 0
		.amdhsa_system_vgpr_workitem_id 0
		.amdhsa_next_free_vgpr 1
		.amdhsa_next_free_sgpr 1
		.amdhsa_reserve_vcc 0
		.amdhsa_float_round_mode_32 0
		.amdhsa_float_round_mode_16_64 0
		.amdhsa_float_denorm_mode_32 3
		.amdhsa_float_denorm_mode_16_64 3
		.amdhsa_dx10_clamp 1
		.amdhsa_ieee_mode 1
		.amdhsa_fp16_overflow 0
		.amdhsa_workgroup_processor_mode 1
		.amdhsa_memory_ordered 1
		.amdhsa_forward_progress 0
		.amdhsa_shared_vgpr_count 0
		.amdhsa_exception_fp_ieee_invalid_op 0
		.amdhsa_exception_fp_denorm_src 0
		.amdhsa_exception_fp_ieee_div_zero 0
		.amdhsa_exception_fp_ieee_overflow 0
		.amdhsa_exception_fp_ieee_underflow 0
		.amdhsa_exception_fp_ieee_inexact 0
		.amdhsa_exception_int_div_zero 0
	.end_amdhsa_kernel
	.section	.text._ZN2ck37kernel_gemm_xdl_waveletmodel_cshuffleINS_53GridwiseGemm_k0mk1_k0nk1_mn_xdl_waveletmodel_cshuffleIDF16_fDF16_DF16_NS_16tensor_operation12element_wise11PassThroughES4_S4_LNS_25InMemoryDataOperationEnumE0ENS_16TensorDescriptorINS_5TupleIJNS_5EmbedINS7_IJiiEEENS7_IJiNS_17integral_constantIiLi1EEEEEELb0EEENS_11PassThroughIiEESF_EEENS7_IJNS_8SequenceIJLi0EEEENSH_IJLi1EEEENSH_IJLi2EEEEEEENS7_IJNSH_IJLi1ELi2EEEENSH_IJLi3EEEENSH_IJLi4EEEEEEENSH_IJLi3ELi4EEEElEESR_SR_Li1ELi256ELi256ELi256ELi128ELi32ELi8ELi8ELi16ELi16ELi8ELi4ENSH_IJLi4ELi64ELi1EEEENSH_IJLi1ELi0ELi2EEEEST_Li2ELi8ELi8ELb0ELi1ESS_ST_ST_Li2ELi8ELi8ELb0ELi1ELi1ELi1ENSH_IJLi1ELi32ELi1ELi8EEEELi4EEEDF16_DF16_S4_S4_S4_NS6_INS7_IJSD_SF_SF_NS_7UnMergeINS7_IJiNSA_IiLi8EEEEEELb0EEESF_EEENS7_IJSI_SJ_SK_SO_SN_EEENS7_IJSM_SN_SO_NSH_IJLi5ELi6EEEENSH_IJLi7EEEEEEENSH_IJLi5ELi7ELi6EEEElEES16_NS6_INS7_IJSD_SF_SF_NSW_INS7_IJiNSA_IiLi256EEEEEELb0EEENSW_INS7_IJiNSA_IiLi128EEEEEELb0EEEEEENS7_IJSI_SJ_SK_SN_SO_EEENS7_IJSM_SN_SO_S12_NSH_IJLi7ELi8EEEEEEENSH_IJLi5ELi6ELi7ELi8EEEElEENS_13TensorAdaptorINS7_IJNSW_ISC_Lb0EEES1K_NS_23Merge_v2_magic_divisionINS7_IJiiSB_SB_EEEEEEEENS7_IJSI_SJ_NSH_IJLi2ELi3ELi4ELi5EEEEEEENS7_IJNSH_IJLi2ELi4EEEENSH_IJLi3ELi5EEEENSH_IJLi6EEEEEEENSH_IJLi0ELi1EEEES1T_EELb0EEEvPKT0_S1Z_PT1_T2_T3_T4_T5_T6_T7_T8_,"axG",@progbits,_ZN2ck37kernel_gemm_xdl_waveletmodel_cshuffleINS_53GridwiseGemm_k0mk1_k0nk1_mn_xdl_waveletmodel_cshuffleIDF16_fDF16_DF16_NS_16tensor_operation12element_wise11PassThroughES4_S4_LNS_25InMemoryDataOperationEnumE0ENS_16TensorDescriptorINS_5TupleIJNS_5EmbedINS7_IJiiEEENS7_IJiNS_17integral_constantIiLi1EEEEEELb0EEENS_11PassThroughIiEESF_EEENS7_IJNS_8SequenceIJLi0EEEENSH_IJLi1EEEENSH_IJLi2EEEEEEENS7_IJNSH_IJLi1ELi2EEEENSH_IJLi3EEEENSH_IJLi4EEEEEEENSH_IJLi3ELi4EEEElEESR_SR_Li1ELi256ELi256ELi256ELi128ELi32ELi8ELi8ELi16ELi16ELi8ELi4ENSH_IJLi4ELi64ELi1EEEENSH_IJLi1ELi0ELi2EEEEST_Li2ELi8ELi8ELb0ELi1ESS_ST_ST_Li2ELi8ELi8ELb0ELi1ELi1ELi1ENSH_IJLi1ELi32ELi1ELi8EEEELi4EEEDF16_DF16_S4_S4_S4_NS6_INS7_IJSD_SF_SF_NS_7UnMergeINS7_IJiNSA_IiLi8EEEEEELb0EEESF_EEENS7_IJSI_SJ_SK_SO_SN_EEENS7_IJSM_SN_SO_NSH_IJLi5ELi6EEEENSH_IJLi7EEEEEEENSH_IJLi5ELi7ELi6EEEElEES16_NS6_INS7_IJSD_SF_SF_NSW_INS7_IJiNSA_IiLi256EEEEEELb0EEENSW_INS7_IJiNSA_IiLi128EEEEEELb0EEEEEENS7_IJSI_SJ_SK_SN_SO_EEENS7_IJSM_SN_SO_S12_NSH_IJLi7ELi8EEEEEEENSH_IJLi5ELi6ELi7ELi8EEEElEENS_13TensorAdaptorINS7_IJNSW_ISC_Lb0EEES1K_NS_23Merge_v2_magic_divisionINS7_IJiiSB_SB_EEEEEEEENS7_IJSI_SJ_NSH_IJLi2ELi3ELi4ELi5EEEEEEENS7_IJNSH_IJLi2ELi4EEEENSH_IJLi3ELi5EEEENSH_IJLi6EEEEEEENSH_IJLi0ELi1EEEES1T_EELb0EEEvPKT0_S1Z_PT1_T2_T3_T4_T5_T6_T7_T8_,comdat
.Lfunc_end2:
	.size	_ZN2ck37kernel_gemm_xdl_waveletmodel_cshuffleINS_53GridwiseGemm_k0mk1_k0nk1_mn_xdl_waveletmodel_cshuffleIDF16_fDF16_DF16_NS_16tensor_operation12element_wise11PassThroughES4_S4_LNS_25InMemoryDataOperationEnumE0ENS_16TensorDescriptorINS_5TupleIJNS_5EmbedINS7_IJiiEEENS7_IJiNS_17integral_constantIiLi1EEEEEELb0EEENS_11PassThroughIiEESF_EEENS7_IJNS_8SequenceIJLi0EEEENSH_IJLi1EEEENSH_IJLi2EEEEEEENS7_IJNSH_IJLi1ELi2EEEENSH_IJLi3EEEENSH_IJLi4EEEEEEENSH_IJLi3ELi4EEEElEESR_SR_Li1ELi256ELi256ELi256ELi128ELi32ELi8ELi8ELi16ELi16ELi8ELi4ENSH_IJLi4ELi64ELi1EEEENSH_IJLi1ELi0ELi2EEEEST_Li2ELi8ELi8ELb0ELi1ESS_ST_ST_Li2ELi8ELi8ELb0ELi1ELi1ELi1ENSH_IJLi1ELi32ELi1ELi8EEEELi4EEEDF16_DF16_S4_S4_S4_NS6_INS7_IJSD_SF_SF_NS_7UnMergeINS7_IJiNSA_IiLi8EEEEEELb0EEESF_EEENS7_IJSI_SJ_SK_SO_SN_EEENS7_IJSM_SN_SO_NSH_IJLi5ELi6EEEENSH_IJLi7EEEEEEENSH_IJLi5ELi7ELi6EEEElEES16_NS6_INS7_IJSD_SF_SF_NSW_INS7_IJiNSA_IiLi256EEEEEELb0EEENSW_INS7_IJiNSA_IiLi128EEEEEELb0EEEEEENS7_IJSI_SJ_SK_SN_SO_EEENS7_IJSM_SN_SO_S12_NSH_IJLi7ELi8EEEEEEENSH_IJLi5ELi6ELi7ELi8EEEElEENS_13TensorAdaptorINS7_IJNSW_ISC_Lb0EEES1K_NS_23Merge_v2_magic_divisionINS7_IJiiSB_SB_EEEEEEEENS7_IJSI_SJ_NSH_IJLi2ELi3ELi4ELi5EEEEEEENS7_IJNSH_IJLi2ELi4EEEENSH_IJLi3ELi5EEEENSH_IJLi6EEEEEEENSH_IJLi0ELi1EEEES1T_EELb0EEEvPKT0_S1Z_PT1_T2_T3_T4_T5_T6_T7_T8_, .Lfunc_end2-_ZN2ck37kernel_gemm_xdl_waveletmodel_cshuffleINS_53GridwiseGemm_k0mk1_k0nk1_mn_xdl_waveletmodel_cshuffleIDF16_fDF16_DF16_NS_16tensor_operation12element_wise11PassThroughES4_S4_LNS_25InMemoryDataOperationEnumE0ENS_16TensorDescriptorINS_5TupleIJNS_5EmbedINS7_IJiiEEENS7_IJiNS_17integral_constantIiLi1EEEEEELb0EEENS_11PassThroughIiEESF_EEENS7_IJNS_8SequenceIJLi0EEEENSH_IJLi1EEEENSH_IJLi2EEEEEEENS7_IJNSH_IJLi1ELi2EEEENSH_IJLi3EEEENSH_IJLi4EEEEEEENSH_IJLi3ELi4EEEElEESR_SR_Li1ELi256ELi256ELi256ELi128ELi32ELi8ELi8ELi16ELi16ELi8ELi4ENSH_IJLi4ELi64ELi1EEEENSH_IJLi1ELi0ELi2EEEEST_Li2ELi8ELi8ELb0ELi1ESS_ST_ST_Li2ELi8ELi8ELb0ELi1ELi1ELi1ENSH_IJLi1ELi32ELi1ELi8EEEELi4EEEDF16_DF16_S4_S4_S4_NS6_INS7_IJSD_SF_SF_NS_7UnMergeINS7_IJiNSA_IiLi8EEEEEELb0EEESF_EEENS7_IJSI_SJ_SK_SO_SN_EEENS7_IJSM_SN_SO_NSH_IJLi5ELi6EEEENSH_IJLi7EEEEEEENSH_IJLi5ELi7ELi6EEEElEES16_NS6_INS7_IJSD_SF_SF_NSW_INS7_IJiNSA_IiLi256EEEEEELb0EEENSW_INS7_IJiNSA_IiLi128EEEEEELb0EEEEEENS7_IJSI_SJ_SK_SN_SO_EEENS7_IJSM_SN_SO_S12_NSH_IJLi7ELi8EEEEEEENSH_IJLi5ELi6ELi7ELi8EEEElEENS_13TensorAdaptorINS7_IJNSW_ISC_Lb0EEES1K_NS_23Merge_v2_magic_divisionINS7_IJiiSB_SB_EEEEEEEENS7_IJSI_SJ_NSH_IJLi2ELi3ELi4ELi5EEEEEEENS7_IJNSH_IJLi2ELi4EEEENSH_IJLi3ELi5EEEENSH_IJLi6EEEEEEENSH_IJLi0ELi1EEEES1T_EELb0EEEvPKT0_S1Z_PT1_T2_T3_T4_T5_T6_T7_T8_
                                        ; -- End function
	.section	.AMDGPU.csdata,"",@progbits
; Kernel info:
; codeLenInByte = 4
; NumSgprs: 0
; NumVgprs: 0
; ScratchSize: 0
; MemoryBound: 0
; FloatMode: 240
; IeeeMode: 1
; LDSByteSize: 0 bytes/workgroup (compile time only)
; SGPRBlocks: 0
; VGPRBlocks: 0
; NumSGPRsForWavesPerEU: 1
; NumVGPRsForWavesPerEU: 1
; Occupancy: 16
; WaveLimiterHint : 0
; COMPUTE_PGM_RSRC2:SCRATCH_EN: 0
; COMPUTE_PGM_RSRC2:USER_SGPR: 15
; COMPUTE_PGM_RSRC2:TRAP_HANDLER: 0
; COMPUTE_PGM_RSRC2:TGID_X_EN: 1
; COMPUTE_PGM_RSRC2:TGID_Y_EN: 0
; COMPUTE_PGM_RSRC2:TGID_Z_EN: 0
; COMPUTE_PGM_RSRC2:TIDIG_COMP_CNT: 0
	.section	.text._ZN2ck37kernel_gemm_xdl_waveletmodel_cshuffleINS_53GridwiseGemm_k0mk1_k0nk1_mn_xdl_waveletmodel_cshuffleIDF16_fDF16_DF16_NS_16tensor_operation12element_wise11PassThroughES4_S4_LNS_25InMemoryDataOperationEnumE0ENS_16TensorDescriptorINS_5TupleIJNS_5EmbedINS7_IJiiEEENS7_IJiNS_17integral_constantIiLi1EEEEEELb0EEENS_11PassThroughIiEESF_EEENS7_IJNS_8SequenceIJLi0EEEENSH_IJLi1EEEENSH_IJLi2EEEEEEENS7_IJNSH_IJLi1ELi2EEEENSH_IJLi3EEEENSH_IJLi4EEEEEEENSH_IJLi3ELi4EEEElEESR_SR_Li1ELi256ELi256ELi256ELi128ELi32ELi8ELi8ELi16ELi16ELi8ELi2ENSH_IJLi4ELi64ELi1EEEENSH_IJLi1ELi0ELi2EEEEST_Li2ELi8ELi8ELb0ELi1ESS_ST_ST_Li2ELi8ELi8ELb0ELi1ELi1ELi1ENSH_IJLi1ELi32ELi1ELi8EEEELi4EEEDF16_DF16_S4_S4_S4_NS6_INS7_IJSD_SF_SF_NS_7UnMergeINS7_IJiNSA_IiLi8EEEEEELb0EEESF_EEENS7_IJSI_SJ_SK_SO_SN_EEENS7_IJSM_SN_SO_NSH_IJLi5ELi6EEEENSH_IJLi7EEEEEEENSH_IJLi5ELi7ELi6EEEElEES16_NS6_INS7_IJSD_SF_SF_NSW_INS7_IJiNSA_IiLi256EEEEEELb0EEENSW_INS7_IJiNSA_IiLi128EEEEEELb0EEEEEENS7_IJSI_SJ_SK_SN_SO_EEENS7_IJSM_SN_SO_S12_NSH_IJLi7ELi8EEEEEEENSH_IJLi5ELi6ELi7ELi8EEEElEENS_13TensorAdaptorINS7_IJNSW_ISC_Lb0EEES1K_NS_23Merge_v2_magic_divisionINS7_IJiiSB_SB_EEEEEEEENS7_IJSI_SJ_NSH_IJLi2ELi3ELi4ELi5EEEEEEENS7_IJNSH_IJLi2ELi4EEEENSH_IJLi3ELi5EEEENSH_IJLi6EEEEEEENSH_IJLi0ELi1EEEES1T_EELb1EEEvPKT0_S1Z_PT1_T2_T3_T4_T5_T6_T7_T8_,"axG",@progbits,_ZN2ck37kernel_gemm_xdl_waveletmodel_cshuffleINS_53GridwiseGemm_k0mk1_k0nk1_mn_xdl_waveletmodel_cshuffleIDF16_fDF16_DF16_NS_16tensor_operation12element_wise11PassThroughES4_S4_LNS_25InMemoryDataOperationEnumE0ENS_16TensorDescriptorINS_5TupleIJNS_5EmbedINS7_IJiiEEENS7_IJiNS_17integral_constantIiLi1EEEEEELb0EEENS_11PassThroughIiEESF_EEENS7_IJNS_8SequenceIJLi0EEEENSH_IJLi1EEEENSH_IJLi2EEEEEEENS7_IJNSH_IJLi1ELi2EEEENSH_IJLi3EEEENSH_IJLi4EEEEEEENSH_IJLi3ELi4EEEElEESR_SR_Li1ELi256ELi256ELi256ELi128ELi32ELi8ELi8ELi16ELi16ELi8ELi2ENSH_IJLi4ELi64ELi1EEEENSH_IJLi1ELi0ELi2EEEEST_Li2ELi8ELi8ELb0ELi1ESS_ST_ST_Li2ELi8ELi8ELb0ELi1ELi1ELi1ENSH_IJLi1ELi32ELi1ELi8EEEELi4EEEDF16_DF16_S4_S4_S4_NS6_INS7_IJSD_SF_SF_NS_7UnMergeINS7_IJiNSA_IiLi8EEEEEELb0EEESF_EEENS7_IJSI_SJ_SK_SO_SN_EEENS7_IJSM_SN_SO_NSH_IJLi5ELi6EEEENSH_IJLi7EEEEEEENSH_IJLi5ELi7ELi6EEEElEES16_NS6_INS7_IJSD_SF_SF_NSW_INS7_IJiNSA_IiLi256EEEEEELb0EEENSW_INS7_IJiNSA_IiLi128EEEEEELb0EEEEEENS7_IJSI_SJ_SK_SN_SO_EEENS7_IJSM_SN_SO_S12_NSH_IJLi7ELi8EEEEEEENSH_IJLi5ELi6ELi7ELi8EEEElEENS_13TensorAdaptorINS7_IJNSW_ISC_Lb0EEES1K_NS_23Merge_v2_magic_divisionINS7_IJiiSB_SB_EEEEEEEENS7_IJSI_SJ_NSH_IJLi2ELi3ELi4ELi5EEEEEEENS7_IJNSH_IJLi2ELi4EEEENSH_IJLi3ELi5EEEENSH_IJLi6EEEEEEENSH_IJLi0ELi1EEEES1T_EELb1EEEvPKT0_S1Z_PT1_T2_T3_T4_T5_T6_T7_T8_,comdat
	.protected	_ZN2ck37kernel_gemm_xdl_waveletmodel_cshuffleINS_53GridwiseGemm_k0mk1_k0nk1_mn_xdl_waveletmodel_cshuffleIDF16_fDF16_DF16_NS_16tensor_operation12element_wise11PassThroughES4_S4_LNS_25InMemoryDataOperationEnumE0ENS_16TensorDescriptorINS_5TupleIJNS_5EmbedINS7_IJiiEEENS7_IJiNS_17integral_constantIiLi1EEEEEELb0EEENS_11PassThroughIiEESF_EEENS7_IJNS_8SequenceIJLi0EEEENSH_IJLi1EEEENSH_IJLi2EEEEEEENS7_IJNSH_IJLi1ELi2EEEENSH_IJLi3EEEENSH_IJLi4EEEEEEENSH_IJLi3ELi4EEEElEESR_SR_Li1ELi256ELi256ELi256ELi128ELi32ELi8ELi8ELi16ELi16ELi8ELi2ENSH_IJLi4ELi64ELi1EEEENSH_IJLi1ELi0ELi2EEEEST_Li2ELi8ELi8ELb0ELi1ESS_ST_ST_Li2ELi8ELi8ELb0ELi1ELi1ELi1ENSH_IJLi1ELi32ELi1ELi8EEEELi4EEEDF16_DF16_S4_S4_S4_NS6_INS7_IJSD_SF_SF_NS_7UnMergeINS7_IJiNSA_IiLi8EEEEEELb0EEESF_EEENS7_IJSI_SJ_SK_SO_SN_EEENS7_IJSM_SN_SO_NSH_IJLi5ELi6EEEENSH_IJLi7EEEEEEENSH_IJLi5ELi7ELi6EEEElEES16_NS6_INS7_IJSD_SF_SF_NSW_INS7_IJiNSA_IiLi256EEEEEELb0EEENSW_INS7_IJiNSA_IiLi128EEEEEELb0EEEEEENS7_IJSI_SJ_SK_SN_SO_EEENS7_IJSM_SN_SO_S12_NSH_IJLi7ELi8EEEEEEENSH_IJLi5ELi6ELi7ELi8EEEElEENS_13TensorAdaptorINS7_IJNSW_ISC_Lb0EEES1K_NS_23Merge_v2_magic_divisionINS7_IJiiSB_SB_EEEEEEEENS7_IJSI_SJ_NSH_IJLi2ELi3ELi4ELi5EEEEEEENS7_IJNSH_IJLi2ELi4EEEENSH_IJLi3ELi5EEEENSH_IJLi6EEEEEEENSH_IJLi0ELi1EEEES1T_EELb1EEEvPKT0_S1Z_PT1_T2_T3_T4_T5_T6_T7_T8_ ; -- Begin function _ZN2ck37kernel_gemm_xdl_waveletmodel_cshuffleINS_53GridwiseGemm_k0mk1_k0nk1_mn_xdl_waveletmodel_cshuffleIDF16_fDF16_DF16_NS_16tensor_operation12element_wise11PassThroughES4_S4_LNS_25InMemoryDataOperationEnumE0ENS_16TensorDescriptorINS_5TupleIJNS_5EmbedINS7_IJiiEEENS7_IJiNS_17integral_constantIiLi1EEEEEELb0EEENS_11PassThroughIiEESF_EEENS7_IJNS_8SequenceIJLi0EEEENSH_IJLi1EEEENSH_IJLi2EEEEEEENS7_IJNSH_IJLi1ELi2EEEENSH_IJLi3EEEENSH_IJLi4EEEEEEENSH_IJLi3ELi4EEEElEESR_SR_Li1ELi256ELi256ELi256ELi128ELi32ELi8ELi8ELi16ELi16ELi8ELi2ENSH_IJLi4ELi64ELi1EEEENSH_IJLi1ELi0ELi2EEEEST_Li2ELi8ELi8ELb0ELi1ESS_ST_ST_Li2ELi8ELi8ELb0ELi1ELi1ELi1ENSH_IJLi1ELi32ELi1ELi8EEEELi4EEEDF16_DF16_S4_S4_S4_NS6_INS7_IJSD_SF_SF_NS_7UnMergeINS7_IJiNSA_IiLi8EEEEEELb0EEESF_EEENS7_IJSI_SJ_SK_SO_SN_EEENS7_IJSM_SN_SO_NSH_IJLi5ELi6EEEENSH_IJLi7EEEEEEENSH_IJLi5ELi7ELi6EEEElEES16_NS6_INS7_IJSD_SF_SF_NSW_INS7_IJiNSA_IiLi256EEEEEELb0EEENSW_INS7_IJiNSA_IiLi128EEEEEELb0EEEEEENS7_IJSI_SJ_SK_SN_SO_EEENS7_IJSM_SN_SO_S12_NSH_IJLi7ELi8EEEEEEENSH_IJLi5ELi6ELi7ELi8EEEElEENS_13TensorAdaptorINS7_IJNSW_ISC_Lb0EEES1K_NS_23Merge_v2_magic_divisionINS7_IJiiSB_SB_EEEEEEEENS7_IJSI_SJ_NSH_IJLi2ELi3ELi4ELi5EEEEEEENS7_IJNSH_IJLi2ELi4EEEENSH_IJLi3ELi5EEEENSH_IJLi6EEEEEEENSH_IJLi0ELi1EEEES1T_EELb1EEEvPKT0_S1Z_PT1_T2_T3_T4_T5_T6_T7_T8_
	.globl	_ZN2ck37kernel_gemm_xdl_waveletmodel_cshuffleINS_53GridwiseGemm_k0mk1_k0nk1_mn_xdl_waveletmodel_cshuffleIDF16_fDF16_DF16_NS_16tensor_operation12element_wise11PassThroughES4_S4_LNS_25InMemoryDataOperationEnumE0ENS_16TensorDescriptorINS_5TupleIJNS_5EmbedINS7_IJiiEEENS7_IJiNS_17integral_constantIiLi1EEEEEELb0EEENS_11PassThroughIiEESF_EEENS7_IJNS_8SequenceIJLi0EEEENSH_IJLi1EEEENSH_IJLi2EEEEEEENS7_IJNSH_IJLi1ELi2EEEENSH_IJLi3EEEENSH_IJLi4EEEEEEENSH_IJLi3ELi4EEEElEESR_SR_Li1ELi256ELi256ELi256ELi128ELi32ELi8ELi8ELi16ELi16ELi8ELi2ENSH_IJLi4ELi64ELi1EEEENSH_IJLi1ELi0ELi2EEEEST_Li2ELi8ELi8ELb0ELi1ESS_ST_ST_Li2ELi8ELi8ELb0ELi1ELi1ELi1ENSH_IJLi1ELi32ELi1ELi8EEEELi4EEEDF16_DF16_S4_S4_S4_NS6_INS7_IJSD_SF_SF_NS_7UnMergeINS7_IJiNSA_IiLi8EEEEEELb0EEESF_EEENS7_IJSI_SJ_SK_SO_SN_EEENS7_IJSM_SN_SO_NSH_IJLi5ELi6EEEENSH_IJLi7EEEEEEENSH_IJLi5ELi7ELi6EEEElEES16_NS6_INS7_IJSD_SF_SF_NSW_INS7_IJiNSA_IiLi256EEEEEELb0EEENSW_INS7_IJiNSA_IiLi128EEEEEELb0EEEEEENS7_IJSI_SJ_SK_SN_SO_EEENS7_IJSM_SN_SO_S12_NSH_IJLi7ELi8EEEEEEENSH_IJLi5ELi6ELi7ELi8EEEElEENS_13TensorAdaptorINS7_IJNSW_ISC_Lb0EEES1K_NS_23Merge_v2_magic_divisionINS7_IJiiSB_SB_EEEEEEEENS7_IJSI_SJ_NSH_IJLi2ELi3ELi4ELi5EEEEEEENS7_IJNSH_IJLi2ELi4EEEENSH_IJLi3ELi5EEEENSH_IJLi6EEEEEEENSH_IJLi0ELi1EEEES1T_EELb1EEEvPKT0_S1Z_PT1_T2_T3_T4_T5_T6_T7_T8_
	.p2align	8
	.type	_ZN2ck37kernel_gemm_xdl_waveletmodel_cshuffleINS_53GridwiseGemm_k0mk1_k0nk1_mn_xdl_waveletmodel_cshuffleIDF16_fDF16_DF16_NS_16tensor_operation12element_wise11PassThroughES4_S4_LNS_25InMemoryDataOperationEnumE0ENS_16TensorDescriptorINS_5TupleIJNS_5EmbedINS7_IJiiEEENS7_IJiNS_17integral_constantIiLi1EEEEEELb0EEENS_11PassThroughIiEESF_EEENS7_IJNS_8SequenceIJLi0EEEENSH_IJLi1EEEENSH_IJLi2EEEEEEENS7_IJNSH_IJLi1ELi2EEEENSH_IJLi3EEEENSH_IJLi4EEEEEEENSH_IJLi3ELi4EEEElEESR_SR_Li1ELi256ELi256ELi256ELi128ELi32ELi8ELi8ELi16ELi16ELi8ELi2ENSH_IJLi4ELi64ELi1EEEENSH_IJLi1ELi0ELi2EEEEST_Li2ELi8ELi8ELb0ELi1ESS_ST_ST_Li2ELi8ELi8ELb0ELi1ELi1ELi1ENSH_IJLi1ELi32ELi1ELi8EEEELi4EEEDF16_DF16_S4_S4_S4_NS6_INS7_IJSD_SF_SF_NS_7UnMergeINS7_IJiNSA_IiLi8EEEEEELb0EEESF_EEENS7_IJSI_SJ_SK_SO_SN_EEENS7_IJSM_SN_SO_NSH_IJLi5ELi6EEEENSH_IJLi7EEEEEEENSH_IJLi5ELi7ELi6EEEElEES16_NS6_INS7_IJSD_SF_SF_NSW_INS7_IJiNSA_IiLi256EEEEEELb0EEENSW_INS7_IJiNSA_IiLi128EEEEEELb0EEEEEENS7_IJSI_SJ_SK_SN_SO_EEENS7_IJSM_SN_SO_S12_NSH_IJLi7ELi8EEEEEEENSH_IJLi5ELi6ELi7ELi8EEEElEENS_13TensorAdaptorINS7_IJNSW_ISC_Lb0EEES1K_NS_23Merge_v2_magic_divisionINS7_IJiiSB_SB_EEEEEEEENS7_IJSI_SJ_NSH_IJLi2ELi3ELi4ELi5EEEEEEENS7_IJNSH_IJLi2ELi4EEEENSH_IJLi3ELi5EEEENSH_IJLi6EEEEEEENSH_IJLi0ELi1EEEES1T_EELb1EEEvPKT0_S1Z_PT1_T2_T3_T4_T5_T6_T7_T8_,@function
_ZN2ck37kernel_gemm_xdl_waveletmodel_cshuffleINS_53GridwiseGemm_k0mk1_k0nk1_mn_xdl_waveletmodel_cshuffleIDF16_fDF16_DF16_NS_16tensor_operation12element_wise11PassThroughES4_S4_LNS_25InMemoryDataOperationEnumE0ENS_16TensorDescriptorINS_5TupleIJNS_5EmbedINS7_IJiiEEENS7_IJiNS_17integral_constantIiLi1EEEEEELb0EEENS_11PassThroughIiEESF_EEENS7_IJNS_8SequenceIJLi0EEEENSH_IJLi1EEEENSH_IJLi2EEEEEEENS7_IJNSH_IJLi1ELi2EEEENSH_IJLi3EEEENSH_IJLi4EEEEEEENSH_IJLi3ELi4EEEElEESR_SR_Li1ELi256ELi256ELi256ELi128ELi32ELi8ELi8ELi16ELi16ELi8ELi2ENSH_IJLi4ELi64ELi1EEEENSH_IJLi1ELi0ELi2EEEEST_Li2ELi8ELi8ELb0ELi1ESS_ST_ST_Li2ELi8ELi8ELb0ELi1ELi1ELi1ENSH_IJLi1ELi32ELi1ELi8EEEELi4EEEDF16_DF16_S4_S4_S4_NS6_INS7_IJSD_SF_SF_NS_7UnMergeINS7_IJiNSA_IiLi8EEEEEELb0EEESF_EEENS7_IJSI_SJ_SK_SO_SN_EEENS7_IJSM_SN_SO_NSH_IJLi5ELi6EEEENSH_IJLi7EEEEEEENSH_IJLi5ELi7ELi6EEEElEES16_NS6_INS7_IJSD_SF_SF_NSW_INS7_IJiNSA_IiLi256EEEEEELb0EEENSW_INS7_IJiNSA_IiLi128EEEEEELb0EEEEEENS7_IJSI_SJ_SK_SN_SO_EEENS7_IJSM_SN_SO_S12_NSH_IJLi7ELi8EEEEEEENSH_IJLi5ELi6ELi7ELi8EEEElEENS_13TensorAdaptorINS7_IJNSW_ISC_Lb0EEES1K_NS_23Merge_v2_magic_divisionINS7_IJiiSB_SB_EEEEEEEENS7_IJSI_SJ_NSH_IJLi2ELi3ELi4ELi5EEEEEEENS7_IJNSH_IJLi2ELi4EEEENSH_IJLi3ELi5EEEENSH_IJLi6EEEEEEENSH_IJLi0ELi1EEEES1T_EELb1EEEvPKT0_S1Z_PT1_T2_T3_T4_T5_T6_T7_T8_: ; @_ZN2ck37kernel_gemm_xdl_waveletmodel_cshuffleINS_53GridwiseGemm_k0mk1_k0nk1_mn_xdl_waveletmodel_cshuffleIDF16_fDF16_DF16_NS_16tensor_operation12element_wise11PassThroughES4_S4_LNS_25InMemoryDataOperationEnumE0ENS_16TensorDescriptorINS_5TupleIJNS_5EmbedINS7_IJiiEEENS7_IJiNS_17integral_constantIiLi1EEEEEELb0EEENS_11PassThroughIiEESF_EEENS7_IJNS_8SequenceIJLi0EEEENSH_IJLi1EEEENSH_IJLi2EEEEEEENS7_IJNSH_IJLi1ELi2EEEENSH_IJLi3EEEENSH_IJLi4EEEEEEENSH_IJLi3ELi4EEEElEESR_SR_Li1ELi256ELi256ELi256ELi128ELi32ELi8ELi8ELi16ELi16ELi8ELi2ENSH_IJLi4ELi64ELi1EEEENSH_IJLi1ELi0ELi2EEEEST_Li2ELi8ELi8ELb0ELi1ESS_ST_ST_Li2ELi8ELi8ELb0ELi1ELi1ELi1ENSH_IJLi1ELi32ELi1ELi8EEEELi4EEEDF16_DF16_S4_S4_S4_NS6_INS7_IJSD_SF_SF_NS_7UnMergeINS7_IJiNSA_IiLi8EEEEEELb0EEESF_EEENS7_IJSI_SJ_SK_SO_SN_EEENS7_IJSM_SN_SO_NSH_IJLi5ELi6EEEENSH_IJLi7EEEEEEENSH_IJLi5ELi7ELi6EEEElEES16_NS6_INS7_IJSD_SF_SF_NSW_INS7_IJiNSA_IiLi256EEEEEELb0EEENSW_INS7_IJiNSA_IiLi128EEEEEELb0EEEEEENS7_IJSI_SJ_SK_SN_SO_EEENS7_IJSM_SN_SO_S12_NSH_IJLi7ELi8EEEEEEENSH_IJLi5ELi6ELi7ELi8EEEElEENS_13TensorAdaptorINS7_IJNSW_ISC_Lb0EEES1K_NS_23Merge_v2_magic_divisionINS7_IJiiSB_SB_EEEEEEEENS7_IJSI_SJ_NSH_IJLi2ELi3ELi4ELi5EEEEEEENS7_IJNSH_IJLi2ELi4EEEENSH_IJLi3ELi5EEEENSH_IJLi6EEEEEEENSH_IJLi0ELi1EEEES1T_EELb1EEEvPKT0_S1Z_PT1_T2_T3_T4_T5_T6_T7_T8_
; %bb.0:
	s_clause 0x3
	s_load_b32 s4, s[0:1], 0x38
	s_load_b32 s5, s[0:1], 0xf8
	;; [unrolled: 1-line block ×4, first 2 shown]
	s_add_u32 s2, s0, 32
	s_addc_u32 s3, s1, 0
	s_waitcnt lgkmcnt(0)
	s_ashr_i32 s8, s4, 31
	s_mul_hi_u32 s5, s5, s15
	s_lshr_b32 s8, s8, 30
	s_add_i32 s5, s15, s5
	s_add_i32 s4, s4, s8
	s_lshr_b32 s5, s5, s6
	s_ashr_i32 s12, s4, 2
	s_mul_i32 s4, s5, s7
	s_lshl_b32 s13, s5, 8
	s_sub_i32 s4, s15, s4
	s_delay_alu instid0(SALU_CYCLE_1)
	s_lshl_b32 s14, s4, 7
	s_mov_b32 s4, exec_lo
	v_cmpx_gt_u32_e32 0x100, v0
	s_xor_b32 s8, exec_lo, s4
	s_cbranch_execnz .LBB3_3
; %bb.1:
	s_and_not1_saveexec_b32 s4, s8
	s_cbranch_execnz .LBB3_6
.LBB3_2:
	s_nop 0
	s_sendmsg sendmsg(MSG_DEALLOC_VGPRS)
	s_endpgm
.LBB3_3:
	v_lshrrev_b32_e32 v1, 1, v0
	v_dual_mov_b32 v9, 0 :: v_dual_lshlrev_b32 v4, 3, v0
	v_bfe_u32 v2, v0, 1, 3
	v_and_b32_e32 v3, 0x80, v0
	s_delay_alu instid0(VALU_DEP_4) | instskip(NEXT) | instid1(VALU_DEP_4)
	v_and_b32_e32 v6, 48, v1
	v_dual_mov_b32 v12, v9 :: v_dual_and_b32 v5, 15, v0
	v_mov_b32_e32 v11, v9
	v_and_or_b32 v1, v4, 8, v2
	scratch_store_b32 off, v6, off offset:32 ; 4-byte Folded Spill
	s_clause 0x2
	s_load_b64 s[4:5], s[0:1], 0x10
	s_load_b32 s9, s[0:1], 0x98
	s_load_b64 s[6:7], s[0:1], 0xc8
	v_mov_b32_e32 v10, v9
	v_dual_mov_b32 v13, v9 :: v_dual_lshlrev_b32 v2, 1, v3
	v_or_b32_e32 v3, v6, v5
	v_mov_b32_e32 v14, v9
	v_mov_b32_e32 v15, v9
	s_delay_alu instid0(VALU_DEP_4) | instskip(NEXT) | instid1(VALU_DEP_4)
	v_lshl_or_b32 v204, v1, 4, v2
	v_dual_mov_b32 v16, v9 :: v_dual_lshlrev_b32 v157, 4, v3
	v_mov_b32_e32 v1, v9
	v_mov_b32_e32 v2, v9
	;; [unrolled: 1-line block ×120, first 2 shown]
	s_waitcnt lgkmcnt(0)
	s_max_i32 s7, s12, 2
	s_clause 0x1
	scratch_store_b128 off, v[1:4], off
	scratch_store_b128 off, v[5:8], off offset:16
	s_add_i32 s7, s7, -1
.LBB3_4:                                ; =>This Inner Loop Header: Depth=1
	s_waitcnt lgkmcnt(0)
	s_waitcnt_vscnt null, 0x0
	s_barrier
	ds_load_b128 v[129:132], v157 offset:16432
	ds_load_b128 v[137:140], v157 offset:17456
	;; [unrolled: 1-line block ×5, first 2 shown]
	ds_load_b128 v[145:148], v204
	ds_load_b128 v[158:161], v204 offset:512
	ds_load_b128 v[162:165], v204 offset:4624
	ds_load_b128 v[170:173], v204 offset:5136
	ds_load_b128 v[166:169], v204 offset:1024
	ds_load_b128 v[174:177], v204 offset:1536
	ds_load_b128 v[178:181], v204 offset:5648
	ds_load_b128 v[186:189], v204 offset:6160
	ds_load_b128 v[182:185], v204 offset:2048
	ds_load_b128 v[190:193], v204 offset:2560
	ds_load_b128 v[194:197], v204 offset:6672
	s_add_i32 s7, s7, -1
	s_delay_alu instid0(SALU_CYCLE_1)
	s_cmp_lg_u32 s7, 0
	s_waitcnt lgkmcnt(10)
	v_nop
	v_wmma_f32_16x16x16_f16 v[121:128], v[145:152], v[129:136], v[121:128]
	v_wmma_f32_16x16x16_f16 v[113:120], v[145:152], v[137:144], v[113:120]
	s_waitcnt lgkmcnt(8)
	v_wmma_f32_16x16x16_f16 v[97:104], v[158:165], v[129:136], v[97:104]
	v_wmma_f32_16x16x16_f16 v[105:112], v[158:165], v[137:144], v[105:112]
	s_waitcnt lgkmcnt(6)
	;; [unrolled: 3-line block ×4, first 2 shown]
	v_wmma_f32_16x16x16_f16 v[57:64], v[182:189], v[129:136], v[57:64]
	v_wmma_f32_16x16x16_f16 v[49:56], v[182:189], v[137:144], v[49:56]
	ds_load_b128 v[145:148], v204 offset:3072
	ds_load_b128 v[158:161], v204 offset:3584
	;; [unrolled: 1-line block ×24, first 2 shown]
	s_waitcnt lgkmcnt(21)
	v_wmma_f32_16x16x16_f16 v[25:32], v[145:152], v[129:136], v[25:32]
	v_wmma_f32_16x16x16_f16 v[17:24], v[145:152], v[137:144], v[17:24]
	s_clause 0x1
	scratch_load_b128 v[145:148], off, off
	scratch_load_b128 v[149:152], off, off offset:16
	v_wmma_f32_16x16x16_f16 v[33:40], v[190:197], v[129:136], v[33:40]
	v_wmma_f32_16x16x16_f16 v[41:48], v[190:197], v[137:144], v[41:48]
	s_waitcnt lgkmcnt(20)
	v_wmma_f32_16x16x16_f16 v[9:16], v[158:165], v[137:144], v[9:16]
	s_waitcnt lgkmcnt(14)
	v_wmma_f32_16x16x16_f16 v[121:128], v[182:189], v[166:173], v[121:128]
	v_wmma_f32_16x16x16_f16 v[113:120], v[182:189], v[174:181], v[113:120]
	s_waitcnt lgkmcnt(12)
	v_wmma_f32_16x16x16_f16 v[97:104], v[205:212], v[166:173], v[97:104]
	;; [unrolled: 3-line block ×8, first 2 shown]
	s_waitcnt vmcnt(0)
	v_wmma_f32_16x16x16_f16 v[145:152], v[158:165], v[129:136], v[145:152]
	s_delay_alu instid0(VALU_DEP_1)
	v_wmma_f32_16x16x16_f16 v[145:152], v[1:8], v[166:173], v[145:152]
	s_clause 0x1
	scratch_store_b128 off, v[145:148], off
	scratch_store_b128 off, v[149:152], off offset:16
	s_waitcnt lgkmcnt(0)
	s_waitcnt_vscnt null, 0x0
	s_barrier
	s_cbranch_scc1 .LBB3_4
; %bb.5:
	s_waitcnt lgkmcnt(0)
	s_barrier
	ds_load_b128 v[5:8], v204 offset:4112
	ds_load_b128 v[161:164], v157 offset:16432
	;; [unrolled: 1-line block ×5, first 2 shown]
	ds_load_b128 v[1:4], v204
	ds_load_b128 v[173:176], v204 offset:512
	ds_load_b128 v[177:180], v204 offset:4624
	;; [unrolled: 1-line block ×12, first 2 shown]
	s_lshl_b32 s6, s6, 1
	s_mov_b32 s7, 0x31004000
	s_waitcnt lgkmcnt(12)
	v_wmma_f32_16x16x16_f16 v[121:128], v[1:8], v[161:168], v[121:128]
	v_wmma_f32_16x16x16_f16 v[113:120], v[1:8], v[137:144], v[113:120]
	s_waitcnt lgkmcnt(10)
	v_wmma_f32_16x16x16_f16 v[97:104], v[173:180], v[161:168], v[97:104]
	v_wmma_f32_16x16x16_f16 v[105:112], v[173:180], v[137:144], v[105:112]
	ds_load_b128 v[173:176], v204 offset:5136
	ds_load_b128 v[133:136], v204 offset:5648
	v_and_b32_e32 v2, 15, v0
	s_waitcnt lgkmcnt(8)
	v_wmma_f32_16x16x16_f16 v[121:128], v[193:200], v[145:152], v[121:128]
	s_waitcnt lgkmcnt(0)
	s_clause 0x1
	scratch_store_b128 off, v[129:132], off offset:36
	scratch_store_b128 off, v[133:136], off offset:52
	v_wmma_f32_16x16x16_f16 v[105:112], v[185:192], v[153:160], v[105:112]
	v_wmma_f32_16x16x16_f16 v[113:120], v[193:200], v[153:160], v[113:120]
	ds_load_b128 v[193:196], v204 offset:9248
	ds_load_b128 v[177:180], v204 offset:9760
	;; [unrolled: 1-line block ×4, first 2 shown]
	v_cvt_f16_f32_e32 v1, v121
	v_cvt_f16_f32_e64 v201, v126
	v_cvt_f16_f32_e64 v255, v105
	v_cvt_f16_f32_e32 v105, v107
	scratch_load_b32 v107, off, off offset:32 ; 4-byte Folded Reload
	scratch_store_b32 off, v1, off offset:68 ; 4-byte Folded Spill
	v_cvt_f16_f32_e32 v1, v122
	v_cvt_f16_f32_e32 v8, v106
	v_lshlrev_b32_e32 v106, 3, v0
	v_cvt_f16_f32_e64 v202, v127
	v_cvt_f16_f32_e64 v203, v128
	scratch_store_b32 off, v1, off offset:72 ; 4-byte Folded Spill
	v_cvt_f16_f32_e32 v1, v123
	v_cvt_f16_f32_e64 v247, v113
	v_cvt_f16_f32_e64 v248, v114
	;; [unrolled: 1-line block ×4, first 2 shown]
	scratch_store_b32 off, v1, off offset:76 ; 4-byte Folded Spill
	v_cvt_f16_f32_e32 v1, v124
	v_cvt_f16_f32_e64 v251, v117
	v_cvt_f16_f32_e64 v252, v118
	;; [unrolled: 1-line block ×4, first 2 shown]
	scratch_store_b32 off, v1, off offset:80 ; 4-byte Folded Spill
	v_cvt_f16_f32_e32 v1, v125
	v_cvt_f16_f32_e32 v7, v108
	;; [unrolled: 1-line block ×5, first 2 shown]
	scratch_store_b32 off, v1, off offset:84 ; 4-byte Folded Spill
	v_lshlrev_b32_e32 v1, 5, v0
	ds_load_b128 v[239:242], v204 offset:2048
	ds_load_b128 v[129:132], v204 offset:2560
	;; [unrolled: 1-line block ×16, first 2 shown]
	v_lshrrev_b32_e32 v204, 3, v0
	s_waitcnt vmcnt(0) lgkmcnt(0)
	s_waitcnt_vscnt null, 0x0
	s_barrier
	v_and_b32_e32 v1, 0x200, v1
	v_cvt_f16_f32_e32 v5, v112
	v_wmma_f32_16x16x16_f16 v[97:104], v[185:192], v[145:152], v[97:104]
	v_wmma_f32_16x16x16_f16 v[89:96], v[169:176], v[161:168], v[89:96]
	;; [unrolled: 1-line block ×3, first 2 shown]
	v_and_or_b32 v1, 0x400, v106, v1
	v_wmma_f32_16x16x16_f16 v[57:64], v[239:246], v[161:168], v[57:64]
	v_wmma_f32_16x16x16_f16 v[49:56], v[239:246], v[137:144], v[49:56]
	;; [unrolled: 1-line block ×14, first 2 shown]
	s_delay_alu instid0(VALU_DEP_4) | instskip(NEXT) | instid1(VALU_DEP_4)
	v_wmma_f32_16x16x16_f16 v[17:24], v[221:228], v[153:160], v[17:24]
	v_wmma_f32_16x16x16_f16 v[9:16], v[229:236], v[153:160], v[9:16]
	v_or3_b32 v2, v1, v2, v107
	v_and_b32_e32 v1, 56, v106
	v_or_b32_e32 v106, s13, v204
	s_delay_alu instid0(VALU_DEP_2) | instskip(NEXT) | instid1(VALU_DEP_1)
	v_or_b32_e32 v0, s14, v1
	v_mad_u64_u32 v[237:238], null, v106, s9, v[0:1]
	scratch_load_b32 v0, off, off offset:68 ; 4-byte Folded Reload
	v_lshlrev_b32_e32 v106, 1, v2
	s_lshl_b32 s9, s9, 5
	s_waitcnt vmcnt(0)
	ds_store_b16 v106, v0
	scratch_load_b32 v0, off, off offset:72 ; 4-byte Folded Reload
	s_waitcnt vmcnt(0)
	ds_store_b16 v106, v0 offset:128
	scratch_load_b32 v0, off, off offset:76 ; 4-byte Folded Reload
	s_waitcnt vmcnt(0)
	ds_store_b16 v106, v0 offset:256
	;; [unrolled: 3-line block ×4, first 2 shown]
	ds_store_b16 v106, v201 offset:640
	ds_store_b16 v106, v202 offset:768
	;; [unrolled: 1-line block ×3, first 2 shown]
	v_lshlrev_b32_e32 v0, 1, v1
	s_waitcnt lgkmcnt(0)
	s_barrier
	v_add_nc_u32_e32 v1, 64, v237
	s_delay_alu instid0(VALU_DEP_2) | instskip(SKIP_1) | instid1(VALU_DEP_3)
	v_lshl_or_b32 v107, v204, 7, v0
	v_lshlrev_b32_e32 v0, 1, v237
	v_lshlrev_b32_e32 v2, 1, v1
	v_add_lshl_u32 v1, v1, s9, 1
	ds_load_2addr_b64 v[201:204], v107 offset1:1
	s_waitcnt lgkmcnt(0)
	buffer_store_b128 v[201:204], v0, s[4:7], 0 offen
	s_waitcnt lgkmcnt(0)
	s_waitcnt_vscnt null, 0x0
	s_barrier
	ds_store_b16 v106, v247
	ds_store_b16 v106, v248 offset:128
	ds_store_b16 v106, v249 offset:256
	;; [unrolled: 1-line block ×7, first 2 shown]
	s_waitcnt lgkmcnt(0)
	s_barrier
	ds_load_2addr_b64 v[201:204], v107 offset1:1
	s_waitcnt lgkmcnt(0)
	s_clause 0x1
	buffer_store_b64 v[201:202], v2, s[4:7], 0 offen
	buffer_store_b64 v[203:204], v0, s[4:7], 0 offen offset:136
	s_waitcnt lgkmcnt(0)
	s_waitcnt_vscnt null, 0x0
	s_barrier
	ds_store_b16 v106, v255
	ds_store_b16 v106, v8 offset:128
	ds_store_b16 v106, v105 offset:256
	;; [unrolled: 1-line block ×7, first 2 shown]
	s_waitcnt lgkmcnt(0)
	s_barrier
	ds_load_2addr_b64 v[201:204], v107 offset1:1
	v_cvt_f16_f32_e32 v0, v97
	v_cvt_f16_f32_e32 v2, v98
	;; [unrolled: 1-line block ×8, first 2 shown]
	s_waitcnt lgkmcnt(0)
	buffer_store_b128 v[201:204], v1, s[4:7], 0 offen
	s_waitcnt lgkmcnt(0)
	s_waitcnt_vscnt null, 0x0
	s_barrier
	ds_store_b16 v106, v0
	ds_store_b16 v106, v2 offset:128
	ds_store_b16 v106, v3 offset:256
	;; [unrolled: 1-line block ×7, first 2 shown]
	s_waitcnt lgkmcnt(0)
	s_barrier
	ds_load_2addr_b64 v[97:100], v107 offset1:1
	v_add_nc_u32_e32 v0, s9, v237
	v_cvt_f16_f32_e32 v1, v89
	v_cvt_f16_f32_e32 v2, v90
	;; [unrolled: 1-line block ×4, first 2 shown]
	v_lshlrev_b32_e32 v5, 1, v0
	v_cvt_f16_f32_e32 v6, v93
	v_cvt_f16_f32_e32 v89, v96
	v_cvt_f16_f32_e32 v7, v94
	v_cvt_f16_f32_e32 v8, v95
	v_add_nc_u32_e32 v0, s9, v0
	s_waitcnt lgkmcnt(0)
	buffer_store_b128 v[97:100], v5, s[4:7], 0 offen
	s_waitcnt lgkmcnt(0)
	s_waitcnt_vscnt null, 0x0
	s_barrier
	ds_store_b16 v106, v1
	ds_store_b16 v106, v2 offset:128
	ds_store_b16 v106, v3 offset:256
	;; [unrolled: 1-line block ×7, first 2 shown]
	s_waitcnt lgkmcnt(0)
	s_barrier
	ds_load_2addr_b64 v[89:92], v107 offset1:1
	v_cvt_f16_f32_e32 v1, v81
	v_lshlrev_b32_e32 v5, 1, v0
	v_cvt_f16_f32_e32 v2, v82
	v_cvt_f16_f32_e32 v3, v83
	;; [unrolled: 1-line block ×7, first 2 shown]
	s_waitcnt lgkmcnt(0)
	buffer_store_b128 v[89:92], v5, s[4:7], 0 offen
	s_waitcnt lgkmcnt(0)
	s_waitcnt_vscnt null, 0x0
	s_barrier
	ds_store_b16 v106, v1
	ds_store_b16 v106, v2 offset:128
	ds_store_b16 v106, v3 offset:256
	;; [unrolled: 1-line block ×7, first 2 shown]
	s_waitcnt lgkmcnt(0)
	s_barrier
	ds_load_2addr_b64 v[81:84], v107 offset1:1
	s_clause 0x1
	scratch_load_b128 v[85:88], off, off offset:36
	scratch_load_b128 v[89:92], off, off offset:52
	v_add_nc_u32_e32 v1, 64, v0
	v_add_nc_u32_e32 v0, s9, v0
	s_delay_alu instid0(VALU_DEP_2)
	v_lshlrev_b32_e32 v7, 1, v1
	s_waitcnt lgkmcnt(0)
	s_clause 0x1
	buffer_store_b64 v[81:82], v7, s[4:7], 0 offen
	buffer_store_b64 v[83:84], v5, s[4:7], 0 offen offset:136
	s_waitcnt vmcnt(0) lgkmcnt(0)
	s_waitcnt_vscnt null, 0x0
	s_barrier
	v_add_lshl_u32 v1, v1, s9, 1
	v_wmma_f32_16x16x16_f16 v[73:80], v[85:92], v[137:144], v[73:80]
	v_wmma_f32_16x16x16_f16 v[65:72], v[85:92], v[161:168], v[65:72]
	s_delay_alu instid0(VALU_DEP_2) | instskip(NEXT) | instid1(VALU_DEP_2)
	v_wmma_f32_16x16x16_f16 v[73:80], v[177:184], v[153:160], v[73:80]
	v_wmma_f32_16x16x16_f16 v[65:72], v[177:184], v[145:152], v[65:72]
	s_delay_alu instid0(VALU_DEP_2) | instskip(NEXT) | instid1(VALU_DEP_3)
	v_cvt_f16_f32_e32 v2, v73
	v_cvt_f16_f32_e32 v3, v74
	s_delay_alu instid0(VALU_DEP_4)
	v_cvt_f16_f32_e32 v4, v75
	v_cvt_f16_f32_e32 v6, v76
	;; [unrolled: 1-line block ×6, first 2 shown]
	ds_store_b16 v106, v2
	ds_store_b16 v106, v3 offset:128
	ds_store_b16 v106, v4 offset:256
	;; [unrolled: 1-line block ×7, first 2 shown]
	s_waitcnt lgkmcnt(0)
	s_barrier
	ds_load_2addr_b64 v[73:76], v107 offset1:1
	v_cvt_f16_f32_e32 v2, v65
	v_cvt_f16_f32_e32 v3, v66
	;; [unrolled: 1-line block ×8, first 2 shown]
	s_waitcnt lgkmcnt(0)
	buffer_store_b128 v[73:76], v1, s[4:7], 0 offen
	s_waitcnt lgkmcnt(0)
	s_waitcnt_vscnt null, 0x0
	s_barrier
	ds_store_b16 v106, v2
	ds_store_b16 v106, v3 offset:128
	ds_store_b16 v106, v4 offset:256
	;; [unrolled: 1-line block ×7, first 2 shown]
	s_waitcnt lgkmcnt(0)
	s_barrier
	ds_load_2addr_b64 v[65:68], v107 offset1:1
	v_cvt_f16_f32_e32 v1, v57
	v_lshlrev_b32_e32 v5, 1, v0
	v_cvt_f16_f32_e32 v2, v58
	v_cvt_f16_f32_e32 v3, v59
	;; [unrolled: 1-line block ×7, first 2 shown]
	s_waitcnt lgkmcnt(0)
	buffer_store_b128 v[65:68], v5, s[4:7], 0 offen
	s_waitcnt lgkmcnt(0)
	s_waitcnt_vscnt null, 0x0
	s_barrier
	ds_store_b16 v106, v1
	ds_store_b16 v106, v2 offset:128
	ds_store_b16 v106, v3 offset:256
	ds_store_b16 v106, v4 offset:384
	ds_store_b16 v106, v6 offset:512
	ds_store_b16 v106, v7 offset:640
	ds_store_b16 v106, v8 offset:768
	ds_store_b16 v106, v57 offset:896
	s_waitcnt lgkmcnt(0)
	s_barrier
	ds_load_2addr_b64 v[57:60], v107 offset1:1
	v_add_nc_u32_e32 v4, s9, v0
	v_cvt_f16_f32_e32 v0, v49
	v_cvt_f16_f32_e32 v1, v50
	v_cvt_f16_f32_e32 v2, v51
	v_cvt_f16_f32_e32 v3, v52
	v_lshlrev_b32_e32 v5, 1, v4
	v_cvt_f16_f32_e32 v6, v53
	v_cvt_f16_f32_e32 v7, v54
	;; [unrolled: 1-line block ×4, first 2 shown]
	s_waitcnt lgkmcnt(0)
	buffer_store_b128 v[57:60], v5, s[4:7], 0 offen
	s_waitcnt lgkmcnt(0)
	s_waitcnt_vscnt null, 0x0
	s_barrier
	ds_store_b16 v106, v0
	ds_store_b16 v106, v1 offset:128
	ds_store_b16 v106, v2 offset:256
	;; [unrolled: 1-line block ×7, first 2 shown]
	s_waitcnt lgkmcnt(0)
	s_barrier
	ds_load_2addr_b64 v[0:3], v107 offset1:1
	v_add_nc_u32_e32 v6, 64, v4
	v_cvt_f16_f32_e32 v8, v47
	v_add_nc_u32_e32 v4, s9, v4
	s_delay_alu instid0(VALU_DEP_3)
	v_lshlrev_b32_e32 v7, 1, v6
	s_waitcnt lgkmcnt(0)
	s_clause 0x1
	buffer_store_b64 v[0:1], v7, s[4:7], 0 offen
	buffer_store_b64 v[2:3], v5, s[4:7], 0 offen offset:136
	v_cvt_f16_f32_e32 v0, v41
	v_cvt_f16_f32_e32 v1, v42
	v_cvt_f16_f32_e32 v2, v43
	v_cvt_f16_f32_e32 v3, v44
	v_cvt_f16_f32_e32 v5, v45
	s_waitcnt lgkmcnt(0)
	s_waitcnt_vscnt null, 0x0
	s_barrier
	v_cvt_f16_f32_e32 v7, v46
	v_cvt_f16_f32_e32 v41, v48
	ds_store_b16 v106, v0
	ds_store_b16 v106, v1 offset:128
	ds_store_b16 v106, v2 offset:256
	;; [unrolled: 1-line block ×7, first 2 shown]
	s_waitcnt lgkmcnt(0)
	s_barrier
	ds_load_2addr_b64 v[0:3], v107 offset1:1
	v_add_lshl_u32 v5, v6, s9, 1
	v_cvt_f16_f32_e32 v6, v38
	v_cvt_f16_f32_e32 v7, v39
	;; [unrolled: 1-line block ×3, first 2 shown]
	s_waitcnt lgkmcnt(0)
	buffer_store_b128 v[0:3], v5, s[4:7], 0 offen
	v_cvt_f16_f32_e32 v0, v33
	v_cvt_f16_f32_e32 v1, v34
	;; [unrolled: 1-line block ×5, first 2 shown]
	s_waitcnt lgkmcnt(0)
	s_waitcnt_vscnt null, 0x0
	s_barrier
	ds_store_b16 v106, v0
	ds_store_b16 v106, v1 offset:128
	ds_store_b16 v106, v2 offset:256
	;; [unrolled: 1-line block ×7, first 2 shown]
	s_waitcnt lgkmcnt(0)
	s_barrier
	ds_load_2addr_b64 v[0:3], v107 offset1:1
	v_lshlrev_b32_e32 v5, 1, v4
	v_cvt_f16_f32_e32 v6, v30
	v_cvt_f16_f32_e32 v7, v31
	;; [unrolled: 1-line block ×3, first 2 shown]
	v_add_nc_u32_e32 v4, s9, v4
	s_waitcnt lgkmcnt(0)
	buffer_store_b128 v[0:3], v5, s[4:7], 0 offen
	v_cvt_f16_f32_e32 v0, v25
	v_cvt_f16_f32_e32 v1, v26
	;; [unrolled: 1-line block ×5, first 2 shown]
	s_waitcnt lgkmcnt(0)
	s_waitcnt_vscnt null, 0x0
	s_barrier
	ds_store_b16 v106, v0
	ds_store_b16 v106, v1 offset:128
	ds_store_b16 v106, v2 offset:256
	;; [unrolled: 1-line block ×7, first 2 shown]
	s_waitcnt lgkmcnt(0)
	s_barrier
	ds_load_2addr_b64 v[0:3], v107 offset1:1
	v_lshlrev_b32_e32 v5, 1, v4
	v_cvt_f16_f32_e32 v6, v21
	v_cvt_f16_f32_e32 v7, v22
	;; [unrolled: 1-line block ×3, first 2 shown]
	s_waitcnt lgkmcnt(0)
	buffer_store_b128 v[0:3], v5, s[4:7], 0 offen
	v_cvt_f16_f32_e32 v0, v17
	v_cvt_f16_f32_e32 v1, v18
	;; [unrolled: 1-line block ×4, first 2 shown]
	s_waitcnt lgkmcnt(0)
	s_waitcnt_vscnt null, 0x0
	s_barrier
	v_cvt_f16_f32_e32 v17, v24
	ds_store_b16 v106, v0
	ds_store_b16 v106, v1 offset:128
	ds_store_b16 v106, v2 offset:256
	;; [unrolled: 1-line block ×7, first 2 shown]
	s_waitcnt lgkmcnt(0)
	s_barrier
	ds_load_2addr_b64 v[0:3], v107 offset1:1
	v_add_nc_u32_e32 v6, 64, v4
	v_cvt_f16_f32_e32 v8, v15
	v_add_lshl_u32 v4, v4, s9, 1
	s_delay_alu instid0(VALU_DEP_3)
	v_lshlrev_b32_e32 v7, 1, v6
	s_waitcnt lgkmcnt(0)
	s_clause 0x1
	buffer_store_b64 v[0:1], v7, s[4:7], 0 offen
	buffer_store_b64 v[2:3], v5, s[4:7], 0 offen offset:136
	v_cvt_f16_f32_e32 v0, v9
	v_cvt_f16_f32_e32 v1, v10
	;; [unrolled: 1-line block ×7, first 2 shown]
	s_waitcnt lgkmcnt(0)
	s_waitcnt_vscnt null, 0x0
	s_barrier
	ds_store_b16 v106, v0
	ds_store_b16 v106, v1 offset:128
	ds_store_b16 v106, v2 offset:256
	;; [unrolled: 1-line block ×7, first 2 shown]
	s_waitcnt lgkmcnt(0)
	s_barrier
	ds_load_2addr_b64 v[0:3], v107 offset1:1
	s_clause 0x1
	scratch_load_b128 v[7:10], off, off
	scratch_load_b128 v[11:14], off, off offset:16
	v_add_lshl_u32 v5, v6, s9, 1
	s_waitcnt lgkmcnt(0)
	buffer_store_b128 v[0:3], v5, s[4:7], 0 offen
	s_waitcnt vmcnt(0) lgkmcnt(0)
	s_waitcnt_vscnt null, 0x0
	s_barrier
	v_wmma_f32_16x16x16_f16 v[7:14], v[213:220], v[161:168], v[7:14]
	s_delay_alu instid0(VALU_DEP_1) | instskip(NEXT) | instid1(VALU_DEP_1)
	v_wmma_f32_16x16x16_f16 v[7:14], v[229:236], v[145:152], v[7:14]
	v_cvt_f16_f32_e32 v0, v7
	s_delay_alu instid0(VALU_DEP_2) | instskip(NEXT) | instid1(VALU_DEP_3)
	v_cvt_f16_f32_e32 v1, v8
	v_cvt_f16_f32_e32 v2, v9
	s_delay_alu instid0(VALU_DEP_4)
	v_cvt_f16_f32_e32 v3, v10
	v_cvt_f16_f32_e32 v5, v11
	;; [unrolled: 1-line block ×5, first 2 shown]
	ds_store_b16 v106, v0
	ds_store_b16 v106, v1 offset:128
	ds_store_b16 v106, v2 offset:256
	;; [unrolled: 1-line block ×7, first 2 shown]
	s_waitcnt lgkmcnt(0)
	s_barrier
	ds_load_2addr_b64 v[0:3], v107 offset1:1
	s_waitcnt lgkmcnt(0)
	buffer_store_b128 v[0:3], v4, s[4:7], 0 offen
                                        ; implicit-def: $vgpr0
	s_and_not1_saveexec_b32 s4, s8
	s_cbranch_execz .LBB3_2
.LBB3_6:
	s_load_b32 s15, s[2:3], 0x8
	v_and_b32_e32 v1, 0x1fc, v0
	s_clause 0x1
	s_load_b128 s[8:11], s[0:1], 0x0
	s_load_b32 s2, s[0:1], 0x50
	v_and_b32_e32 v6, 3, v0
	v_add_nc_u32_e32 v0, 0xffffff00, v0
	v_add_nc_u32_e32 v2, 0xffffff00, v1
	s_mov_b32 s7, 0x31004000
	s_add_i32 s12, s12, -1
	v_lshlrev_b32_e32 v4, 3, v6
	v_lshrrev_b32_e32 v0, 1, v0
	v_add_nc_u32_e32 v3, s13, v2
	s_mov_b32 s3, s7
	v_lshlrev_b32_e32 v2, 4, v2
	v_mul_u32_u24_e32 v33, 0x810, v6
	s_delay_alu instid0(VALU_DEP_2)
	v_mad_u32_u24 v35, 0x1010, v6, v2
	s_waitcnt lgkmcnt(0)
	v_mul_lo_u32 v3, v3, s15
	s_mov_b32 s5, s9
	s_load_b32 s9, s[0:1], 0x60
	s_lshl_b32 s6, s2, 1
	s_mov_b32 s4, s8
	s_load_b32 s0, s[0:1], 0x88
	s_mov_b32 s1, s11
	s_delay_alu instid0(VALU_DEP_1) | instskip(SKIP_1) | instid1(VALU_DEP_1)
	v_add_nc_u32_e32 v5, v3, v4
	s_max_i32 s8, s12, 1
	v_add_nc_u32_e32 v7, s15, v5
	v_lshlrev_b32_e32 v5, 1, v5
	s_delay_alu instid0(VALU_DEP_2)
	v_add_nc_u32_e32 v8, s15, v7
	buffer_load_b128 v[9:12], v5, s[4:7], 0 offen
	v_and_b32_e32 v5, 0x7ffffffe, v0
	v_lshlrev_b32_e32 v7, 1, v7
	v_lshlrev_b32_e32 v17, 1, v8
	v_add_lshl_u32 v8, v8, s15, 1
	s_delay_alu instid0(VALU_DEP_4)
	v_add_nc_u32_e32 v0, s14, v5
	buffer_load_b128 v[13:16], v7, s[4:7], 0 offen
	s_waitcnt lgkmcnt(0)
	s_lshl_b32 s2, s0, 1
	s_mov_b32 s0, s10
	buffer_load_b128 v[17:20], v17, s[4:7], 0 offen
	v_mul_lo_u32 v7, v0, s9
	buffer_load_b128 v[21:24], v8, s[4:7], 0 offen
	v_lshlrev_b32_e32 v36, 4, v5
	; sched_group_barrier mask(0x00000020) size(4) SyncID(0)
	v_add_nc_u32_e32 v0, v7, v4
	s_delay_alu instid0(VALU_DEP_1)
	v_lshlrev_b32_e32 v4, 1, v0
	v_add_lshl_u32 v0, v0, s9, 1
	s_clause 0x1
	buffer_load_b128 v[25:28], v4, s[0:3], 0 offen
	buffer_load_b128 v[29:32], v0, s[0:3], 0 offen
	v_add_nc_u32_e32 v0, s13, v1
	v_mul_u32_u24_e32 v1, 0x1010, v6
	; sched_group_barrier mask(0x00000020) size(4) SyncID(0)
	; sched_group_barrier mask(0x00000002) size(8) SyncID(0)
	s_delay_alu instid0(VALU_DEP_2) | instskip(SKIP_2) | instid1(VALU_DEP_4)
	v_add_nc_u32_e32 v4, 0xffffff03, v0
	v_add_nc_u32_e32 v8, 0xffffff02, v0
	;; [unrolled: 1-line block ×4, first 2 shown]
	v_lshl_add_u32 v2, v3, 1, 64
	v_mul_lo_u32 v4, s15, v4
	v_mul_lo_u32 v8, s15, v8
	;; [unrolled: 1-line block ×3, first 2 shown]
	v_lshlrev_b32_e32 v0, 4, v6
	s_delay_alu instid0(VALU_DEP_4) | instskip(NEXT) | instid1(VALU_DEP_4)
	v_lshl_add_u32 v3, v4, 1, 64
	v_lshl_add_u32 v4, v8, 1, 64
	v_add_nc_u32_e32 v8, s9, v7
	v_lshl_add_u32 v5, v34, 1, 64
	v_mad_u32_u24 v34, 0x810, v6, v36
	v_add_nc_u32_e32 v6, v36, v33
	v_lshl_add_u32 v7, v7, 1, 64
	v_lshl_add_u32 v8, v8, 1, 64
	s_waitcnt vmcnt(5)
	ds_store_b128 v35, v[9:12]
	s_waitcnt vmcnt(4)
	ds_store_b128 v35, v[13:16] offset:16
	s_waitcnt vmcnt(3)
	ds_store_b128 v35, v[17:20] offset:32
	s_waitcnt vmcnt(2)
	ds_store_b128 v35, v[21:24] offset:48
	s_waitcnt vmcnt(1)
	ds_store_b128 v34, v[25:28] offset:16432
	s_waitcnt vmcnt(0)
	ds_store_b128 v34, v[29:32] offset:16448
	s_set_inst_prefetch_distance 0x1
	.p2align	6
.LBB3_7:                                ; =>This Inner Loop Header: Depth=1
	v_add_nc_u32_e32 v21, v0, v2
	s_waitcnt lgkmcnt(0)
	s_waitcnt_vscnt null, 0x0
	s_barrier
	v_add_nc_u32_e32 v2, 64, v2
	s_add_i32 s8, s8, -1
	buffer_load_b128 v[21:24], v21, s[4:7], 0 offen
	v_add_nc_u32_e32 v17, v0, v5
	v_add_nc_u32_e32 v5, 64, v5
	s_cmp_lg_u32 s8, 0
	buffer_load_b128 v[17:20], v17, s[4:7], 0 offen
	v_add_nc_u32_e32 v13, v0, v4
	buffer_load_b128 v[13:16], v13, s[4:7], 0 offen
	v_add_nc_u32_e32 v9, v0, v3
	;; [unrolled: 2-line block ×3, first 2 shown]
	v_add_nc_u32_e32 v7, 64, v7
	; sched_group_barrier mask(0x00000020) size(4) SyncID(0)
	buffer_load_b128 v[29:32], v29, s[0:3], 0 offen
	v_add_nc_u32_e32 v25, v0, v8
	v_add_nc_u32_e32 v8, 64, v8
	buffer_load_b128 v[25:28], v25, s[0:3], 0 offen
	v_add_nc_u32_e32 v3, 64, v3
	v_add_nc_u32_e32 v4, 64, v4
	; sched_group_barrier mask(0x00000020) size(4) SyncID(0)
	; sched_group_barrier mask(0x00000002) size(8) SyncID(0)
	s_waitcnt vmcnt(0) lgkmcnt(0)
	s_barrier
	ds_store_b128 v1, v[21:24]
	ds_store_b128 v1, v[17:20] offset:16
	ds_store_b128 v1, v[13:16] offset:32
	;; [unrolled: 1-line block ×5, first 2 shown]
	s_cbranch_scc1 .LBB3_7
; %bb.8:
	s_set_inst_prefetch_distance 0x2
	s_waitcnt lgkmcnt(0)
	s_barrier
	s_waitcnt lgkmcnt(0)
	s_barrier
	;; [unrolled: 2-line block ×3, first 2 shown]
	s_endpgm
	.section	.rodata,"a",@progbits
	.p2align	6, 0x0
	.amdhsa_kernel _ZN2ck37kernel_gemm_xdl_waveletmodel_cshuffleINS_53GridwiseGemm_k0mk1_k0nk1_mn_xdl_waveletmodel_cshuffleIDF16_fDF16_DF16_NS_16tensor_operation12element_wise11PassThroughES4_S4_LNS_25InMemoryDataOperationEnumE0ENS_16TensorDescriptorINS_5TupleIJNS_5EmbedINS7_IJiiEEENS7_IJiNS_17integral_constantIiLi1EEEEEELb0EEENS_11PassThroughIiEESF_EEENS7_IJNS_8SequenceIJLi0EEEENSH_IJLi1EEEENSH_IJLi2EEEEEEENS7_IJNSH_IJLi1ELi2EEEENSH_IJLi3EEEENSH_IJLi4EEEEEEENSH_IJLi3ELi4EEEElEESR_SR_Li1ELi256ELi256ELi256ELi128ELi32ELi8ELi8ELi16ELi16ELi8ELi2ENSH_IJLi4ELi64ELi1EEEENSH_IJLi1ELi0ELi2EEEEST_Li2ELi8ELi8ELb0ELi1ESS_ST_ST_Li2ELi8ELi8ELb0ELi1ELi1ELi1ENSH_IJLi1ELi32ELi1ELi8EEEELi4EEEDF16_DF16_S4_S4_S4_NS6_INS7_IJSD_SF_SF_NS_7UnMergeINS7_IJiNSA_IiLi8EEEEEELb0EEESF_EEENS7_IJSI_SJ_SK_SO_SN_EEENS7_IJSM_SN_SO_NSH_IJLi5ELi6EEEENSH_IJLi7EEEEEEENSH_IJLi5ELi7ELi6EEEElEES16_NS6_INS7_IJSD_SF_SF_NSW_INS7_IJiNSA_IiLi256EEEEEELb0EEENSW_INS7_IJiNSA_IiLi128EEEEEELb0EEEEEENS7_IJSI_SJ_SK_SN_SO_EEENS7_IJSM_SN_SO_S12_NSH_IJLi7ELi8EEEEEEENSH_IJLi5ELi6ELi7ELi8EEEElEENS_13TensorAdaptorINS7_IJNSW_ISC_Lb0EEES1K_NS_23Merge_v2_magic_divisionINS7_IJiiSB_SB_EEEEEEEENS7_IJSI_SJ_NSH_IJLi2ELi3ELi4ELi5EEEEEEENS7_IJNSH_IJLi2ELi4EEEENSH_IJLi3ELi5EEEENSH_IJLi6EEEEEEENSH_IJLi0ELi1EEEES1T_EELb1EEEvPKT0_S1Z_PT1_T2_T3_T4_T5_T6_T7_T8_
		.amdhsa_group_segment_fixed_size 24672
		.amdhsa_private_segment_fixed_size 92
		.amdhsa_kernarg_size 276
		.amdhsa_user_sgpr_count 15
		.amdhsa_user_sgpr_dispatch_ptr 0
		.amdhsa_user_sgpr_queue_ptr 0
		.amdhsa_user_sgpr_kernarg_segment_ptr 1
		.amdhsa_user_sgpr_dispatch_id 0
		.amdhsa_user_sgpr_private_segment_size 0
		.amdhsa_wavefront_size32 1
		.amdhsa_uses_dynamic_stack 0
		.amdhsa_enable_private_segment 1
		.amdhsa_system_sgpr_workgroup_id_x 1
		.amdhsa_system_sgpr_workgroup_id_y 0
		.amdhsa_system_sgpr_workgroup_id_z 0
		.amdhsa_system_sgpr_workgroup_info 0
		.amdhsa_system_vgpr_workitem_id 0
		.amdhsa_next_free_vgpr 256
		.amdhsa_next_free_sgpr 16
		.amdhsa_reserve_vcc 0
		.amdhsa_float_round_mode_32 0
		.amdhsa_float_round_mode_16_64 0
		.amdhsa_float_denorm_mode_32 3
		.amdhsa_float_denorm_mode_16_64 3
		.amdhsa_dx10_clamp 1
		.amdhsa_ieee_mode 1
		.amdhsa_fp16_overflow 0
		.amdhsa_workgroup_processor_mode 1
		.amdhsa_memory_ordered 1
		.amdhsa_forward_progress 0
		.amdhsa_shared_vgpr_count 0
		.amdhsa_exception_fp_ieee_invalid_op 0
		.amdhsa_exception_fp_denorm_src 0
		.amdhsa_exception_fp_ieee_div_zero 0
		.amdhsa_exception_fp_ieee_overflow 0
		.amdhsa_exception_fp_ieee_underflow 0
		.amdhsa_exception_fp_ieee_inexact 0
		.amdhsa_exception_int_div_zero 0
	.end_amdhsa_kernel
	.section	.text._ZN2ck37kernel_gemm_xdl_waveletmodel_cshuffleINS_53GridwiseGemm_k0mk1_k0nk1_mn_xdl_waveletmodel_cshuffleIDF16_fDF16_DF16_NS_16tensor_operation12element_wise11PassThroughES4_S4_LNS_25InMemoryDataOperationEnumE0ENS_16TensorDescriptorINS_5TupleIJNS_5EmbedINS7_IJiiEEENS7_IJiNS_17integral_constantIiLi1EEEEEELb0EEENS_11PassThroughIiEESF_EEENS7_IJNS_8SequenceIJLi0EEEENSH_IJLi1EEEENSH_IJLi2EEEEEEENS7_IJNSH_IJLi1ELi2EEEENSH_IJLi3EEEENSH_IJLi4EEEEEEENSH_IJLi3ELi4EEEElEESR_SR_Li1ELi256ELi256ELi256ELi128ELi32ELi8ELi8ELi16ELi16ELi8ELi2ENSH_IJLi4ELi64ELi1EEEENSH_IJLi1ELi0ELi2EEEEST_Li2ELi8ELi8ELb0ELi1ESS_ST_ST_Li2ELi8ELi8ELb0ELi1ELi1ELi1ENSH_IJLi1ELi32ELi1ELi8EEEELi4EEEDF16_DF16_S4_S4_S4_NS6_INS7_IJSD_SF_SF_NS_7UnMergeINS7_IJiNSA_IiLi8EEEEEELb0EEESF_EEENS7_IJSI_SJ_SK_SO_SN_EEENS7_IJSM_SN_SO_NSH_IJLi5ELi6EEEENSH_IJLi7EEEEEEENSH_IJLi5ELi7ELi6EEEElEES16_NS6_INS7_IJSD_SF_SF_NSW_INS7_IJiNSA_IiLi256EEEEEELb0EEENSW_INS7_IJiNSA_IiLi128EEEEEELb0EEEEEENS7_IJSI_SJ_SK_SN_SO_EEENS7_IJSM_SN_SO_S12_NSH_IJLi7ELi8EEEEEEENSH_IJLi5ELi6ELi7ELi8EEEElEENS_13TensorAdaptorINS7_IJNSW_ISC_Lb0EEES1K_NS_23Merge_v2_magic_divisionINS7_IJiiSB_SB_EEEEEEEENS7_IJSI_SJ_NSH_IJLi2ELi3ELi4ELi5EEEEEEENS7_IJNSH_IJLi2ELi4EEEENSH_IJLi3ELi5EEEENSH_IJLi6EEEEEEENSH_IJLi0ELi1EEEES1T_EELb1EEEvPKT0_S1Z_PT1_T2_T3_T4_T5_T6_T7_T8_,"axG",@progbits,_ZN2ck37kernel_gemm_xdl_waveletmodel_cshuffleINS_53GridwiseGemm_k0mk1_k0nk1_mn_xdl_waveletmodel_cshuffleIDF16_fDF16_DF16_NS_16tensor_operation12element_wise11PassThroughES4_S4_LNS_25InMemoryDataOperationEnumE0ENS_16TensorDescriptorINS_5TupleIJNS_5EmbedINS7_IJiiEEENS7_IJiNS_17integral_constantIiLi1EEEEEELb0EEENS_11PassThroughIiEESF_EEENS7_IJNS_8SequenceIJLi0EEEENSH_IJLi1EEEENSH_IJLi2EEEEEEENS7_IJNSH_IJLi1ELi2EEEENSH_IJLi3EEEENSH_IJLi4EEEEEEENSH_IJLi3ELi4EEEElEESR_SR_Li1ELi256ELi256ELi256ELi128ELi32ELi8ELi8ELi16ELi16ELi8ELi2ENSH_IJLi4ELi64ELi1EEEENSH_IJLi1ELi0ELi2EEEEST_Li2ELi8ELi8ELb0ELi1ESS_ST_ST_Li2ELi8ELi8ELb0ELi1ELi1ELi1ENSH_IJLi1ELi32ELi1ELi8EEEELi4EEEDF16_DF16_S4_S4_S4_NS6_INS7_IJSD_SF_SF_NS_7UnMergeINS7_IJiNSA_IiLi8EEEEEELb0EEESF_EEENS7_IJSI_SJ_SK_SO_SN_EEENS7_IJSM_SN_SO_NSH_IJLi5ELi6EEEENSH_IJLi7EEEEEEENSH_IJLi5ELi7ELi6EEEElEES16_NS6_INS7_IJSD_SF_SF_NSW_INS7_IJiNSA_IiLi256EEEEEELb0EEENSW_INS7_IJiNSA_IiLi128EEEEEELb0EEEEEENS7_IJSI_SJ_SK_SN_SO_EEENS7_IJSM_SN_SO_S12_NSH_IJLi7ELi8EEEEEEENSH_IJLi5ELi6ELi7ELi8EEEElEENS_13TensorAdaptorINS7_IJNSW_ISC_Lb0EEES1K_NS_23Merge_v2_magic_divisionINS7_IJiiSB_SB_EEEEEEEENS7_IJSI_SJ_NSH_IJLi2ELi3ELi4ELi5EEEEEEENS7_IJNSH_IJLi2ELi4EEEENSH_IJLi3ELi5EEEENSH_IJLi6EEEEEEENSH_IJLi0ELi1EEEES1T_EELb1EEEvPKT0_S1Z_PT1_T2_T3_T4_T5_T6_T7_T8_,comdat
.Lfunc_end3:
	.size	_ZN2ck37kernel_gemm_xdl_waveletmodel_cshuffleINS_53GridwiseGemm_k0mk1_k0nk1_mn_xdl_waveletmodel_cshuffleIDF16_fDF16_DF16_NS_16tensor_operation12element_wise11PassThroughES4_S4_LNS_25InMemoryDataOperationEnumE0ENS_16TensorDescriptorINS_5TupleIJNS_5EmbedINS7_IJiiEEENS7_IJiNS_17integral_constantIiLi1EEEEEELb0EEENS_11PassThroughIiEESF_EEENS7_IJNS_8SequenceIJLi0EEEENSH_IJLi1EEEENSH_IJLi2EEEEEEENS7_IJNSH_IJLi1ELi2EEEENSH_IJLi3EEEENSH_IJLi4EEEEEEENSH_IJLi3ELi4EEEElEESR_SR_Li1ELi256ELi256ELi256ELi128ELi32ELi8ELi8ELi16ELi16ELi8ELi2ENSH_IJLi4ELi64ELi1EEEENSH_IJLi1ELi0ELi2EEEEST_Li2ELi8ELi8ELb0ELi1ESS_ST_ST_Li2ELi8ELi8ELb0ELi1ELi1ELi1ENSH_IJLi1ELi32ELi1ELi8EEEELi4EEEDF16_DF16_S4_S4_S4_NS6_INS7_IJSD_SF_SF_NS_7UnMergeINS7_IJiNSA_IiLi8EEEEEELb0EEESF_EEENS7_IJSI_SJ_SK_SO_SN_EEENS7_IJSM_SN_SO_NSH_IJLi5ELi6EEEENSH_IJLi7EEEEEEENSH_IJLi5ELi7ELi6EEEElEES16_NS6_INS7_IJSD_SF_SF_NSW_INS7_IJiNSA_IiLi256EEEEEELb0EEENSW_INS7_IJiNSA_IiLi128EEEEEELb0EEEEEENS7_IJSI_SJ_SK_SN_SO_EEENS7_IJSM_SN_SO_S12_NSH_IJLi7ELi8EEEEEEENSH_IJLi5ELi6ELi7ELi8EEEElEENS_13TensorAdaptorINS7_IJNSW_ISC_Lb0EEES1K_NS_23Merge_v2_magic_divisionINS7_IJiiSB_SB_EEEEEEEENS7_IJSI_SJ_NSH_IJLi2ELi3ELi4ELi5EEEEEEENS7_IJNSH_IJLi2ELi4EEEENSH_IJLi3ELi5EEEENSH_IJLi6EEEEEEENSH_IJLi0ELi1EEEES1T_EELb1EEEvPKT0_S1Z_PT1_T2_T3_T4_T5_T6_T7_T8_, .Lfunc_end3-_ZN2ck37kernel_gemm_xdl_waveletmodel_cshuffleINS_53GridwiseGemm_k0mk1_k0nk1_mn_xdl_waveletmodel_cshuffleIDF16_fDF16_DF16_NS_16tensor_operation12element_wise11PassThroughES4_S4_LNS_25InMemoryDataOperationEnumE0ENS_16TensorDescriptorINS_5TupleIJNS_5EmbedINS7_IJiiEEENS7_IJiNS_17integral_constantIiLi1EEEEEELb0EEENS_11PassThroughIiEESF_EEENS7_IJNS_8SequenceIJLi0EEEENSH_IJLi1EEEENSH_IJLi2EEEEEEENS7_IJNSH_IJLi1ELi2EEEENSH_IJLi3EEEENSH_IJLi4EEEEEEENSH_IJLi3ELi4EEEElEESR_SR_Li1ELi256ELi256ELi256ELi128ELi32ELi8ELi8ELi16ELi16ELi8ELi2ENSH_IJLi4ELi64ELi1EEEENSH_IJLi1ELi0ELi2EEEEST_Li2ELi8ELi8ELb0ELi1ESS_ST_ST_Li2ELi8ELi8ELb0ELi1ELi1ELi1ENSH_IJLi1ELi32ELi1ELi8EEEELi4EEEDF16_DF16_S4_S4_S4_NS6_INS7_IJSD_SF_SF_NS_7UnMergeINS7_IJiNSA_IiLi8EEEEEELb0EEESF_EEENS7_IJSI_SJ_SK_SO_SN_EEENS7_IJSM_SN_SO_NSH_IJLi5ELi6EEEENSH_IJLi7EEEEEEENSH_IJLi5ELi7ELi6EEEElEES16_NS6_INS7_IJSD_SF_SF_NSW_INS7_IJiNSA_IiLi256EEEEEELb0EEENSW_INS7_IJiNSA_IiLi128EEEEEELb0EEEEEENS7_IJSI_SJ_SK_SN_SO_EEENS7_IJSM_SN_SO_S12_NSH_IJLi7ELi8EEEEEEENSH_IJLi5ELi6ELi7ELi8EEEElEENS_13TensorAdaptorINS7_IJNSW_ISC_Lb0EEES1K_NS_23Merge_v2_magic_divisionINS7_IJiiSB_SB_EEEEEEEENS7_IJSI_SJ_NSH_IJLi2ELi3ELi4ELi5EEEEEEENS7_IJNSH_IJLi2ELi4EEEENSH_IJLi3ELi5EEEENSH_IJLi6EEEEEEENSH_IJLi0ELi1EEEES1T_EELb1EEEvPKT0_S1Z_PT1_T2_T3_T4_T5_T6_T7_T8_
                                        ; -- End function
	.section	.AMDGPU.csdata,"",@progbits
; Kernel info:
; codeLenInByte = 5568
; NumSgprs: 16
; NumVgprs: 256
; ScratchSize: 92
; MemoryBound: 0
; FloatMode: 240
; IeeeMode: 1
; LDSByteSize: 24672 bytes/workgroup (compile time only)
; SGPRBlocks: 1
; VGPRBlocks: 31
; NumSGPRsForWavesPerEU: 16
; NumVGPRsForWavesPerEU: 256
; Occupancy: 5
; WaveLimiterHint : 1
; COMPUTE_PGM_RSRC2:SCRATCH_EN: 1
; COMPUTE_PGM_RSRC2:USER_SGPR: 15
; COMPUTE_PGM_RSRC2:TRAP_HANDLER: 0
; COMPUTE_PGM_RSRC2:TGID_X_EN: 1
; COMPUTE_PGM_RSRC2:TGID_Y_EN: 0
; COMPUTE_PGM_RSRC2:TGID_Z_EN: 0
; COMPUTE_PGM_RSRC2:TIDIG_COMP_CNT: 0
	.section	.text._ZN2ck37kernel_gemm_xdl_waveletmodel_cshuffleINS_53GridwiseGemm_k0mk1_k0nk1_mn_xdl_waveletmodel_cshuffleIDF16_fDF16_DF16_NS_16tensor_operation12element_wise11PassThroughES4_S4_LNS_25InMemoryDataOperationEnumE0ENS_16TensorDescriptorINS_5TupleIJNS_5EmbedINS7_IJiiEEENS7_IJiNS_17integral_constantIiLi1EEEEEELb0EEENS_11PassThroughIiEESF_EEENS7_IJNS_8SequenceIJLi0EEEENSH_IJLi1EEEENSH_IJLi2EEEEEEENS7_IJNSH_IJLi1ELi2EEEENSH_IJLi3EEEENSH_IJLi4EEEEEEENSH_IJLi3ELi4EEEElEESR_SR_Li1ELi256ELi256ELi256ELi128ELi32ELi8ELi8ELi16ELi16ELi8ELi2ENSH_IJLi4ELi64ELi1EEEENSH_IJLi1ELi0ELi2EEEEST_Li2ELi8ELi8ELb0ELi1ESS_ST_ST_Li2ELi8ELi8ELb0ELi1ELi1ELi1ENSH_IJLi1ELi32ELi1ELi8EEEELi4EEEDF16_DF16_S4_S4_S4_NS6_INS7_IJSD_SF_SF_NS_7UnMergeINS7_IJiNSA_IiLi8EEEEEELb0EEESF_EEENS7_IJSI_SJ_SK_SO_SN_EEENS7_IJSM_SN_SO_NSH_IJLi5ELi6EEEENSH_IJLi7EEEEEEENSH_IJLi5ELi7ELi6EEEElEES16_NS6_INS7_IJSD_SF_SF_NSW_INS7_IJiNSA_IiLi256EEEEEELb0EEENSW_INS7_IJiNSA_IiLi128EEEEEELb0EEEEEENS7_IJSI_SJ_SK_SN_SO_EEENS7_IJSM_SN_SO_S12_NSH_IJLi7ELi8EEEEEEENSH_IJLi5ELi6ELi7ELi8EEEElEENS_13TensorAdaptorINS7_IJNSW_ISC_Lb0EEES1K_NS_23Merge_v2_magic_divisionINS7_IJiiSB_SB_EEEEEEEENS7_IJSI_SJ_NSH_IJLi2ELi3ELi4ELi5EEEEEEENS7_IJNSH_IJLi2ELi4EEEENSH_IJLi3ELi5EEEENSH_IJLi6EEEEEEENSH_IJLi0ELi1EEEES1T_EELb0EEEvPKT0_S1Z_PT1_T2_T3_T4_T5_T6_T7_T8_,"axG",@progbits,_ZN2ck37kernel_gemm_xdl_waveletmodel_cshuffleINS_53GridwiseGemm_k0mk1_k0nk1_mn_xdl_waveletmodel_cshuffleIDF16_fDF16_DF16_NS_16tensor_operation12element_wise11PassThroughES4_S4_LNS_25InMemoryDataOperationEnumE0ENS_16TensorDescriptorINS_5TupleIJNS_5EmbedINS7_IJiiEEENS7_IJiNS_17integral_constantIiLi1EEEEEELb0EEENS_11PassThroughIiEESF_EEENS7_IJNS_8SequenceIJLi0EEEENSH_IJLi1EEEENSH_IJLi2EEEEEEENS7_IJNSH_IJLi1ELi2EEEENSH_IJLi3EEEENSH_IJLi4EEEEEEENSH_IJLi3ELi4EEEElEESR_SR_Li1ELi256ELi256ELi256ELi128ELi32ELi8ELi8ELi16ELi16ELi8ELi2ENSH_IJLi4ELi64ELi1EEEENSH_IJLi1ELi0ELi2EEEEST_Li2ELi8ELi8ELb0ELi1ESS_ST_ST_Li2ELi8ELi8ELb0ELi1ELi1ELi1ENSH_IJLi1ELi32ELi1ELi8EEEELi4EEEDF16_DF16_S4_S4_S4_NS6_INS7_IJSD_SF_SF_NS_7UnMergeINS7_IJiNSA_IiLi8EEEEEELb0EEESF_EEENS7_IJSI_SJ_SK_SO_SN_EEENS7_IJSM_SN_SO_NSH_IJLi5ELi6EEEENSH_IJLi7EEEEEEENSH_IJLi5ELi7ELi6EEEElEES16_NS6_INS7_IJSD_SF_SF_NSW_INS7_IJiNSA_IiLi256EEEEEELb0EEENSW_INS7_IJiNSA_IiLi128EEEEEELb0EEEEEENS7_IJSI_SJ_SK_SN_SO_EEENS7_IJSM_SN_SO_S12_NSH_IJLi7ELi8EEEEEEENSH_IJLi5ELi6ELi7ELi8EEEElEENS_13TensorAdaptorINS7_IJNSW_ISC_Lb0EEES1K_NS_23Merge_v2_magic_divisionINS7_IJiiSB_SB_EEEEEEEENS7_IJSI_SJ_NSH_IJLi2ELi3ELi4ELi5EEEEEEENS7_IJNSH_IJLi2ELi4EEEENSH_IJLi3ELi5EEEENSH_IJLi6EEEEEEENSH_IJLi0ELi1EEEES1T_EELb0EEEvPKT0_S1Z_PT1_T2_T3_T4_T5_T6_T7_T8_,comdat
	.protected	_ZN2ck37kernel_gemm_xdl_waveletmodel_cshuffleINS_53GridwiseGemm_k0mk1_k0nk1_mn_xdl_waveletmodel_cshuffleIDF16_fDF16_DF16_NS_16tensor_operation12element_wise11PassThroughES4_S4_LNS_25InMemoryDataOperationEnumE0ENS_16TensorDescriptorINS_5TupleIJNS_5EmbedINS7_IJiiEEENS7_IJiNS_17integral_constantIiLi1EEEEEELb0EEENS_11PassThroughIiEESF_EEENS7_IJNS_8SequenceIJLi0EEEENSH_IJLi1EEEENSH_IJLi2EEEEEEENS7_IJNSH_IJLi1ELi2EEEENSH_IJLi3EEEENSH_IJLi4EEEEEEENSH_IJLi3ELi4EEEElEESR_SR_Li1ELi256ELi256ELi256ELi128ELi32ELi8ELi8ELi16ELi16ELi8ELi2ENSH_IJLi4ELi64ELi1EEEENSH_IJLi1ELi0ELi2EEEEST_Li2ELi8ELi8ELb0ELi1ESS_ST_ST_Li2ELi8ELi8ELb0ELi1ELi1ELi1ENSH_IJLi1ELi32ELi1ELi8EEEELi4EEEDF16_DF16_S4_S4_S4_NS6_INS7_IJSD_SF_SF_NS_7UnMergeINS7_IJiNSA_IiLi8EEEEEELb0EEESF_EEENS7_IJSI_SJ_SK_SO_SN_EEENS7_IJSM_SN_SO_NSH_IJLi5ELi6EEEENSH_IJLi7EEEEEEENSH_IJLi5ELi7ELi6EEEElEES16_NS6_INS7_IJSD_SF_SF_NSW_INS7_IJiNSA_IiLi256EEEEEELb0EEENSW_INS7_IJiNSA_IiLi128EEEEEELb0EEEEEENS7_IJSI_SJ_SK_SN_SO_EEENS7_IJSM_SN_SO_S12_NSH_IJLi7ELi8EEEEEEENSH_IJLi5ELi6ELi7ELi8EEEElEENS_13TensorAdaptorINS7_IJNSW_ISC_Lb0EEES1K_NS_23Merge_v2_magic_divisionINS7_IJiiSB_SB_EEEEEEEENS7_IJSI_SJ_NSH_IJLi2ELi3ELi4ELi5EEEEEEENS7_IJNSH_IJLi2ELi4EEEENSH_IJLi3ELi5EEEENSH_IJLi6EEEEEEENSH_IJLi0ELi1EEEES1T_EELb0EEEvPKT0_S1Z_PT1_T2_T3_T4_T5_T6_T7_T8_ ; -- Begin function _ZN2ck37kernel_gemm_xdl_waveletmodel_cshuffleINS_53GridwiseGemm_k0mk1_k0nk1_mn_xdl_waveletmodel_cshuffleIDF16_fDF16_DF16_NS_16tensor_operation12element_wise11PassThroughES4_S4_LNS_25InMemoryDataOperationEnumE0ENS_16TensorDescriptorINS_5TupleIJNS_5EmbedINS7_IJiiEEENS7_IJiNS_17integral_constantIiLi1EEEEEELb0EEENS_11PassThroughIiEESF_EEENS7_IJNS_8SequenceIJLi0EEEENSH_IJLi1EEEENSH_IJLi2EEEEEEENS7_IJNSH_IJLi1ELi2EEEENSH_IJLi3EEEENSH_IJLi4EEEEEEENSH_IJLi3ELi4EEEElEESR_SR_Li1ELi256ELi256ELi256ELi128ELi32ELi8ELi8ELi16ELi16ELi8ELi2ENSH_IJLi4ELi64ELi1EEEENSH_IJLi1ELi0ELi2EEEEST_Li2ELi8ELi8ELb0ELi1ESS_ST_ST_Li2ELi8ELi8ELb0ELi1ELi1ELi1ENSH_IJLi1ELi32ELi1ELi8EEEELi4EEEDF16_DF16_S4_S4_S4_NS6_INS7_IJSD_SF_SF_NS_7UnMergeINS7_IJiNSA_IiLi8EEEEEELb0EEESF_EEENS7_IJSI_SJ_SK_SO_SN_EEENS7_IJSM_SN_SO_NSH_IJLi5ELi6EEEENSH_IJLi7EEEEEEENSH_IJLi5ELi7ELi6EEEElEES16_NS6_INS7_IJSD_SF_SF_NSW_INS7_IJiNSA_IiLi256EEEEEELb0EEENSW_INS7_IJiNSA_IiLi128EEEEEELb0EEEEEENS7_IJSI_SJ_SK_SN_SO_EEENS7_IJSM_SN_SO_S12_NSH_IJLi7ELi8EEEEEEENSH_IJLi5ELi6ELi7ELi8EEEElEENS_13TensorAdaptorINS7_IJNSW_ISC_Lb0EEES1K_NS_23Merge_v2_magic_divisionINS7_IJiiSB_SB_EEEEEEEENS7_IJSI_SJ_NSH_IJLi2ELi3ELi4ELi5EEEEEEENS7_IJNSH_IJLi2ELi4EEEENSH_IJLi3ELi5EEEENSH_IJLi6EEEEEEENSH_IJLi0ELi1EEEES1T_EELb0EEEvPKT0_S1Z_PT1_T2_T3_T4_T5_T6_T7_T8_
	.globl	_ZN2ck37kernel_gemm_xdl_waveletmodel_cshuffleINS_53GridwiseGemm_k0mk1_k0nk1_mn_xdl_waveletmodel_cshuffleIDF16_fDF16_DF16_NS_16tensor_operation12element_wise11PassThroughES4_S4_LNS_25InMemoryDataOperationEnumE0ENS_16TensorDescriptorINS_5TupleIJNS_5EmbedINS7_IJiiEEENS7_IJiNS_17integral_constantIiLi1EEEEEELb0EEENS_11PassThroughIiEESF_EEENS7_IJNS_8SequenceIJLi0EEEENSH_IJLi1EEEENSH_IJLi2EEEEEEENS7_IJNSH_IJLi1ELi2EEEENSH_IJLi3EEEENSH_IJLi4EEEEEEENSH_IJLi3ELi4EEEElEESR_SR_Li1ELi256ELi256ELi256ELi128ELi32ELi8ELi8ELi16ELi16ELi8ELi2ENSH_IJLi4ELi64ELi1EEEENSH_IJLi1ELi0ELi2EEEEST_Li2ELi8ELi8ELb0ELi1ESS_ST_ST_Li2ELi8ELi8ELb0ELi1ELi1ELi1ENSH_IJLi1ELi32ELi1ELi8EEEELi4EEEDF16_DF16_S4_S4_S4_NS6_INS7_IJSD_SF_SF_NS_7UnMergeINS7_IJiNSA_IiLi8EEEEEELb0EEESF_EEENS7_IJSI_SJ_SK_SO_SN_EEENS7_IJSM_SN_SO_NSH_IJLi5ELi6EEEENSH_IJLi7EEEEEEENSH_IJLi5ELi7ELi6EEEElEES16_NS6_INS7_IJSD_SF_SF_NSW_INS7_IJiNSA_IiLi256EEEEEELb0EEENSW_INS7_IJiNSA_IiLi128EEEEEELb0EEEEEENS7_IJSI_SJ_SK_SN_SO_EEENS7_IJSM_SN_SO_S12_NSH_IJLi7ELi8EEEEEEENSH_IJLi5ELi6ELi7ELi8EEEElEENS_13TensorAdaptorINS7_IJNSW_ISC_Lb0EEES1K_NS_23Merge_v2_magic_divisionINS7_IJiiSB_SB_EEEEEEEENS7_IJSI_SJ_NSH_IJLi2ELi3ELi4ELi5EEEEEEENS7_IJNSH_IJLi2ELi4EEEENSH_IJLi3ELi5EEEENSH_IJLi6EEEEEEENSH_IJLi0ELi1EEEES1T_EELb0EEEvPKT0_S1Z_PT1_T2_T3_T4_T5_T6_T7_T8_
	.p2align	8
	.type	_ZN2ck37kernel_gemm_xdl_waveletmodel_cshuffleINS_53GridwiseGemm_k0mk1_k0nk1_mn_xdl_waveletmodel_cshuffleIDF16_fDF16_DF16_NS_16tensor_operation12element_wise11PassThroughES4_S4_LNS_25InMemoryDataOperationEnumE0ENS_16TensorDescriptorINS_5TupleIJNS_5EmbedINS7_IJiiEEENS7_IJiNS_17integral_constantIiLi1EEEEEELb0EEENS_11PassThroughIiEESF_EEENS7_IJNS_8SequenceIJLi0EEEENSH_IJLi1EEEENSH_IJLi2EEEEEEENS7_IJNSH_IJLi1ELi2EEEENSH_IJLi3EEEENSH_IJLi4EEEEEEENSH_IJLi3ELi4EEEElEESR_SR_Li1ELi256ELi256ELi256ELi128ELi32ELi8ELi8ELi16ELi16ELi8ELi2ENSH_IJLi4ELi64ELi1EEEENSH_IJLi1ELi0ELi2EEEEST_Li2ELi8ELi8ELb0ELi1ESS_ST_ST_Li2ELi8ELi8ELb0ELi1ELi1ELi1ENSH_IJLi1ELi32ELi1ELi8EEEELi4EEEDF16_DF16_S4_S4_S4_NS6_INS7_IJSD_SF_SF_NS_7UnMergeINS7_IJiNSA_IiLi8EEEEEELb0EEESF_EEENS7_IJSI_SJ_SK_SO_SN_EEENS7_IJSM_SN_SO_NSH_IJLi5ELi6EEEENSH_IJLi7EEEEEEENSH_IJLi5ELi7ELi6EEEElEES16_NS6_INS7_IJSD_SF_SF_NSW_INS7_IJiNSA_IiLi256EEEEEELb0EEENSW_INS7_IJiNSA_IiLi128EEEEEELb0EEEEEENS7_IJSI_SJ_SK_SN_SO_EEENS7_IJSM_SN_SO_S12_NSH_IJLi7ELi8EEEEEEENSH_IJLi5ELi6ELi7ELi8EEEElEENS_13TensorAdaptorINS7_IJNSW_ISC_Lb0EEES1K_NS_23Merge_v2_magic_divisionINS7_IJiiSB_SB_EEEEEEEENS7_IJSI_SJ_NSH_IJLi2ELi3ELi4ELi5EEEEEEENS7_IJNSH_IJLi2ELi4EEEENSH_IJLi3ELi5EEEENSH_IJLi6EEEEEEENSH_IJLi0ELi1EEEES1T_EELb0EEEvPKT0_S1Z_PT1_T2_T3_T4_T5_T6_T7_T8_,@function
_ZN2ck37kernel_gemm_xdl_waveletmodel_cshuffleINS_53GridwiseGemm_k0mk1_k0nk1_mn_xdl_waveletmodel_cshuffleIDF16_fDF16_DF16_NS_16tensor_operation12element_wise11PassThroughES4_S4_LNS_25InMemoryDataOperationEnumE0ENS_16TensorDescriptorINS_5TupleIJNS_5EmbedINS7_IJiiEEENS7_IJiNS_17integral_constantIiLi1EEEEEELb0EEENS_11PassThroughIiEESF_EEENS7_IJNS_8SequenceIJLi0EEEENSH_IJLi1EEEENSH_IJLi2EEEEEEENS7_IJNSH_IJLi1ELi2EEEENSH_IJLi3EEEENSH_IJLi4EEEEEEENSH_IJLi3ELi4EEEElEESR_SR_Li1ELi256ELi256ELi256ELi128ELi32ELi8ELi8ELi16ELi16ELi8ELi2ENSH_IJLi4ELi64ELi1EEEENSH_IJLi1ELi0ELi2EEEEST_Li2ELi8ELi8ELb0ELi1ESS_ST_ST_Li2ELi8ELi8ELb0ELi1ELi1ELi1ENSH_IJLi1ELi32ELi1ELi8EEEELi4EEEDF16_DF16_S4_S4_S4_NS6_INS7_IJSD_SF_SF_NS_7UnMergeINS7_IJiNSA_IiLi8EEEEEELb0EEESF_EEENS7_IJSI_SJ_SK_SO_SN_EEENS7_IJSM_SN_SO_NSH_IJLi5ELi6EEEENSH_IJLi7EEEEEEENSH_IJLi5ELi7ELi6EEEElEES16_NS6_INS7_IJSD_SF_SF_NSW_INS7_IJiNSA_IiLi256EEEEEELb0EEENSW_INS7_IJiNSA_IiLi128EEEEEELb0EEEEEENS7_IJSI_SJ_SK_SN_SO_EEENS7_IJSM_SN_SO_S12_NSH_IJLi7ELi8EEEEEEENSH_IJLi5ELi6ELi7ELi8EEEElEENS_13TensorAdaptorINS7_IJNSW_ISC_Lb0EEES1K_NS_23Merge_v2_magic_divisionINS7_IJiiSB_SB_EEEEEEEENS7_IJSI_SJ_NSH_IJLi2ELi3ELi4ELi5EEEEEEENS7_IJNSH_IJLi2ELi4EEEENSH_IJLi3ELi5EEEENSH_IJLi6EEEEEEENSH_IJLi0ELi1EEEES1T_EELb0EEEvPKT0_S1Z_PT1_T2_T3_T4_T5_T6_T7_T8_: ; @_ZN2ck37kernel_gemm_xdl_waveletmodel_cshuffleINS_53GridwiseGemm_k0mk1_k0nk1_mn_xdl_waveletmodel_cshuffleIDF16_fDF16_DF16_NS_16tensor_operation12element_wise11PassThroughES4_S4_LNS_25InMemoryDataOperationEnumE0ENS_16TensorDescriptorINS_5TupleIJNS_5EmbedINS7_IJiiEEENS7_IJiNS_17integral_constantIiLi1EEEEEELb0EEENS_11PassThroughIiEESF_EEENS7_IJNS_8SequenceIJLi0EEEENSH_IJLi1EEEENSH_IJLi2EEEEEEENS7_IJNSH_IJLi1ELi2EEEENSH_IJLi3EEEENSH_IJLi4EEEEEEENSH_IJLi3ELi4EEEElEESR_SR_Li1ELi256ELi256ELi256ELi128ELi32ELi8ELi8ELi16ELi16ELi8ELi2ENSH_IJLi4ELi64ELi1EEEENSH_IJLi1ELi0ELi2EEEEST_Li2ELi8ELi8ELb0ELi1ESS_ST_ST_Li2ELi8ELi8ELb0ELi1ELi1ELi1ENSH_IJLi1ELi32ELi1ELi8EEEELi4EEEDF16_DF16_S4_S4_S4_NS6_INS7_IJSD_SF_SF_NS_7UnMergeINS7_IJiNSA_IiLi8EEEEEELb0EEESF_EEENS7_IJSI_SJ_SK_SO_SN_EEENS7_IJSM_SN_SO_NSH_IJLi5ELi6EEEENSH_IJLi7EEEEEEENSH_IJLi5ELi7ELi6EEEElEES16_NS6_INS7_IJSD_SF_SF_NSW_INS7_IJiNSA_IiLi256EEEEEELb0EEENSW_INS7_IJiNSA_IiLi128EEEEEELb0EEEEEENS7_IJSI_SJ_SK_SN_SO_EEENS7_IJSM_SN_SO_S12_NSH_IJLi7ELi8EEEEEEENSH_IJLi5ELi6ELi7ELi8EEEElEENS_13TensorAdaptorINS7_IJNSW_ISC_Lb0EEES1K_NS_23Merge_v2_magic_divisionINS7_IJiiSB_SB_EEEEEEEENS7_IJSI_SJ_NSH_IJLi2ELi3ELi4ELi5EEEEEEENS7_IJNSH_IJLi2ELi4EEEENSH_IJLi3ELi5EEEENSH_IJLi6EEEEEEENSH_IJLi0ELi1EEEES1T_EELb0EEEvPKT0_S1Z_PT1_T2_T3_T4_T5_T6_T7_T8_
; %bb.0:
	s_clause 0x2
	s_load_b32 s2, s[0:1], 0xf8
	s_load_b32 s3, s[0:1], 0x104
	;; [unrolled: 1-line block ×3, first 2 shown]
	s_waitcnt lgkmcnt(0)
	s_mul_hi_u32 s2, s2, s15
	s_delay_alu instid0(SALU_CYCLE_1) | instskip(NEXT) | instid1(SALU_CYCLE_1)
	s_add_i32 s2, s15, s2
	s_lshr_b32 s2, s2, s3
	s_delay_alu instid0(SALU_CYCLE_1) | instskip(NEXT) | instid1(SALU_CYCLE_1)
	s_mul_i32 s3, s2, s4
	s_sub_i32 s4, s15, s3
	s_lshl_b32 s3, s2, 8
	s_lshl_b32 s2, s4, 7
	s_mov_b32 s4, exec_lo
	v_cmpx_gt_u32_e32 0x100, v0
	s_xor_b32 s12, exec_lo, s4
	s_cbranch_execnz .LBB4_3
; %bb.1:
	s_and_not1_saveexec_b32 s4, s12
	s_cbranch_execnz .LBB4_4
.LBB4_2:
	s_nop 0
	s_sendmsg sendmsg(MSG_DEALLOC_VGPRS)
	s_endpgm
.LBB4_3:
	v_lshrrev_b32_e32 v1, 1, v0
	v_lshlrev_b32_e32 v129, 3, v0
	v_bfe_u32 v2, v0, 1, 3
	v_and_b32_e32 v3, 0x80, v0
	v_and_b32_e32 v130, 15, v0
	;; [unrolled: 1-line block ×3, first 2 shown]
	s_waitcnt lgkmcnt(0)
	v_and_or_b32 v1, v129, 8, v2
	v_lshlrev_b32_e32 v2, 1, v3
	s_barrier
	v_or_b32_e32 v3, v131, v130
	s_mov_b32 s4, 0
	v_lshlrev_b32_e32 v149, 5, v0
	v_lshl_or_b32 v132, v1, 4, v2
	s_mov_b32 s11, s4
	v_lshlrev_b32_e32 v37, 4, v3
	s_mov_b32 s5, s4
	ds_load_b128 v[49:52], v132
	ds_load_b128 v[53:56], v132 offset:4112
	ds_load_b128 v[41:44], v132 offset:8224
	;; [unrolled: 1-line block ×9, first 2 shown]
	s_mov_b32 s6, s4
	s_mov_b32 s7, s4
	;; [unrolled: 1-line block ×5, first 2 shown]
	s_delay_alu instid0(SALU_CYCLE_1)
	v_dual_mov_b32 v32, s11 :: v_dual_mov_b32 v31, s10
	v_dual_mov_b32 v30, s9 :: v_dual_mov_b32 v29, s8
	;; [unrolled: 1-line block ×4, first 2 shown]
	v_and_b32_e32 v149, 0x200, v149
	v_and_b32_e32 v181, 56, v129
	s_load_b32 s8, s[0:1], 0x98
	ds_load_b128 v[105:108], v132 offset:512
	ds_load_b128 v[109:112], v132 offset:4624
	;; [unrolled: 1-line block ×6, first 2 shown]
	s_waitcnt lgkmcnt(0)
	v_wmma_f32_16x16x16_f16 v[121:128], v[49:56], v[1:8], v[25:32]
	ds_load_b128 v[33:36], v37 offset:21584
	ds_load_b128 v[37:40], v37 offset:23648
	v_lshrrev_b32_e32 v0, 3, v0
	v_wmma_f32_16x16x16_f16 v[113:120], v[49:56], v[17:24], v[25:32]
	v_wmma_f32_16x16x16_f16 v[121:128], v[41:48], v[9:16], v[121:128]
	ds_load_b128 v[77:80], v132 offset:5136
	ds_load_b128 v[61:64], v132 offset:5648
	;; [unrolled: 1-line block ×14, first 2 shown]
	s_mov_b32 s7, 0x31004000
	v_cvt_f16_f32_e64 v173, v121
	v_and_or_b32 v121, 0x400, v129, v149
	v_lshlrev_b32_e32 v129, 1, v181
	v_cvt_f16_f32_e64 v174, v122
	v_cvt_f16_f32_e64 v175, v123
	;; [unrolled: 1-line block ×3, first 2 shown]
	v_or3_b32 v130, v121, v130, v131
	v_cvt_f16_f32_e64 v177, v125
	v_cvt_f16_f32_e64 v178, v126
	;; [unrolled: 1-line block ×4, first 2 shown]
	v_lshlrev_b32_e32 v182, 1, v130
	ds_load_b128 v[121:124], v132 offset:3072
	ds_load_b128 v[149:152], v132 offset:3584
	;; [unrolled: 1-line block ×8, first 2 shown]
	s_waitcnt lgkmcnt(0)
	s_barrier
	ds_store_b16 v182, v173
	ds_store_b16 v182, v174 offset:128
	ds_store_b16 v182, v175 offset:256
	;; [unrolled: 1-line block ×7, first 2 shown]
	v_lshl_or_b32 v175, v0, 7, v129
	s_clause 0x1
	s_load_b32 s6, s[0:1], 0xc8
	s_load_b64 s[4:5], s[0:1], 0x10
	s_waitcnt lgkmcnt(0)
	s_barrier
	v_or_b32_e32 v176, s3, v0
	ds_load_2addr_b64 v[129:132], v175 offset1:1
	v_or_b32_e32 v0, s2, v181
	v_wmma_f32_16x16x16_f16 v[113:120], v[41:48], v[33:40], v[113:120]
	s_delay_alu instid0(VALU_DEP_2) | instskip(NEXT) | instid1(VALU_DEP_2)
	v_mad_u64_u32 v[173:174], null, s8, v176, v[0:1]
	v_cvt_f16_f32_e32 v0, v113
	s_delay_alu instid0(VALU_DEP_3) | instskip(NEXT) | instid1(VALU_DEP_4)
	v_cvt_f16_f32_e32 v41, v114
	v_cvt_f16_f32_e32 v42, v115
	;; [unrolled: 1-line block ×5, first 2 shown]
	v_lshlrev_b32_e32 v174, 1, v173
	s_lshl_b32 s6, s6, 1
	v_cvt_f16_f32_e32 v46, v119
	v_cvt_f16_f32_e32 v47, v120
	v_wmma_f32_16x16x16_f16 v[113:120], v[105:112], v[1:8], v[25:32]
	s_waitcnt lgkmcnt(0)
	buffer_store_b128 v[129:132], v174, s[4:7], 0 offen
	s_waitcnt lgkmcnt(0)
	s_waitcnt_vscnt null, 0x0
	s_barrier
	ds_store_b16 v182, v0
	ds_store_b16 v182, v41 offset:128
	ds_store_b16 v182, v42 offset:256
	;; [unrolled: 1-line block ×7, first 2 shown]
	s_waitcnt lgkmcnt(0)
	s_barrier
	ds_load_2addr_b64 v[129:132], v175 offset1:1
	v_wmma_f32_16x16x16_f16 v[41:48], v[105:112], v[17:24], v[25:32]
	v_add_nc_u32_e32 v0, 64, v173
	v_wmma_f32_16x16x16_f16 v[113:120], v[89:96], v[9:16], v[113:120]
	s_lshl_b32 s8, s8, 5
	s_delay_alu instid0(VALU_DEP_3) | instskip(NEXT) | instid1(VALU_DEP_3)
	v_wmma_f32_16x16x16_f16 v[41:48], v[89:96], v[33:40], v[41:48]
	v_lshlrev_b32_e32 v105, 1, v0
	s_waitcnt lgkmcnt(0)
	s_clause 0x1
	buffer_store_b64 v[129:130], v105, s[4:7], 0 offen
	buffer_store_b64 v[131:132], v174, s[4:7], 0 offen offset:136
	v_cvt_f16_f32_e32 v41, v41
	v_cvt_f16_f32_e32 v42, v42
	;; [unrolled: 1-line block ×8, first 2 shown]
	s_waitcnt lgkmcnt(0)
	s_waitcnt_vscnt null, 0x0
	s_barrier
	ds_store_b16 v182, v41
	ds_store_b16 v182, v42 offset:128
	ds_store_b16 v182, v43 offset:256
	;; [unrolled: 1-line block ×7, first 2 shown]
	s_waitcnt lgkmcnt(0)
	s_barrier
	ds_load_2addr_b64 v[41:44], v175 offset1:1
	v_cvt_f16_f32_e32 v45, v113
	v_add_lshl_u32 v0, v0, s8, 1
	v_cvt_f16_f32_e32 v46, v114
	v_cvt_f16_f32_e32 v47, v115
	;; [unrolled: 1-line block ×7, first 2 shown]
	s_waitcnt lgkmcnt(0)
	buffer_store_b128 v[41:44], v0, s[4:7], 0 offen
	s_waitcnt lgkmcnt(0)
	s_waitcnt_vscnt null, 0x0
	s_barrier
	ds_store_b16 v182, v45
	ds_store_b16 v182, v46 offset:128
	ds_store_b16 v182, v47 offset:256
	;; [unrolled: 1-line block ×7, first 2 shown]
	s_waitcnt lgkmcnt(0)
	s_barrier
	ds_load_2addr_b64 v[89:92], v175 offset1:1
	v_wmma_f32_16x16x16_f16 v[41:48], v[73:80], v[1:8], v[25:32]
	v_add_nc_u32_e32 v0, s8, v173
	s_delay_alu instid0(VALU_DEP_2) | instskip(NEXT) | instid1(VALU_DEP_2)
	v_wmma_f32_16x16x16_f16 v[41:48], v[97:104], v[9:16], v[41:48]
	v_lshlrev_b32_e32 v93, 1, v0
	v_add_nc_u32_e32 v0, s8, v0
	s_delay_alu instid0(VALU_DEP_3) | instskip(NEXT) | instid1(VALU_DEP_4)
	v_cvt_f16_f32_e32 v41, v41
	v_cvt_f16_f32_e32 v42, v42
	;; [unrolled: 1-line block ×8, first 2 shown]
	s_waitcnt lgkmcnt(0)
	buffer_store_b128 v[89:92], v93, s[4:7], 0 offen
	s_waitcnt lgkmcnt(0)
	s_waitcnt_vscnt null, 0x0
	s_barrier
	ds_store_b16 v182, v41
	ds_store_b16 v182, v42 offset:128
	ds_store_b16 v182, v43 offset:256
	;; [unrolled: 1-line block ×7, first 2 shown]
	s_waitcnt lgkmcnt(0)
	s_barrier
	ds_load_2addr_b64 v[89:92], v175 offset1:1
	v_wmma_f32_16x16x16_f16 v[41:48], v[73:80], v[17:24], v[25:32]
	v_lshlrev_b32_e32 v77, 1, v0
	v_add_nc_u32_e32 v78, 64, v0
	v_add_nc_u32_e32 v0, s8, v0
	s_delay_alu instid0(VALU_DEP_4) | instskip(NEXT) | instid1(VALU_DEP_3)
	v_wmma_f32_16x16x16_f16 v[41:48], v[97:104], v[33:40], v[41:48]
	v_lshlrev_b32_e32 v79, 1, v78
	s_delay_alu instid0(VALU_DEP_2) | instskip(NEXT) | instid1(VALU_DEP_3)
	v_cvt_f16_f32_e32 v41, v41
	v_cvt_f16_f32_e32 v42, v42
	s_delay_alu instid0(VALU_DEP_4)
	v_cvt_f16_f32_e32 v43, v43
	v_cvt_f16_f32_e32 v44, v44
	;; [unrolled: 1-line block ×6, first 2 shown]
	s_waitcnt lgkmcnt(0)
	buffer_store_b128 v[89:92], v77, s[4:7], 0 offen
	s_waitcnt lgkmcnt(0)
	s_waitcnt_vscnt null, 0x0
	s_barrier
	ds_store_b16 v182, v41
	ds_store_b16 v182, v42 offset:128
	ds_store_b16 v182, v43 offset:256
	;; [unrolled: 1-line block ×7, first 2 shown]
	s_waitcnt lgkmcnt(0)
	s_barrier
	ds_load_2addr_b64 v[73:76], v175 offset1:1
	v_wmma_f32_16x16x16_f16 v[41:48], v[57:64], v[17:24], v[25:32]
	s_waitcnt lgkmcnt(0)
	s_clause 0x1
	buffer_store_b64 v[73:74], v79, s[4:7], 0 offen
	buffer_store_b64 v[75:76], v77, s[4:7], 0 offen offset:136
	v_wmma_f32_16x16x16_f16 v[41:48], v[81:88], v[33:40], v[41:48]
	s_waitcnt lgkmcnt(0)
	s_waitcnt_vscnt null, 0x0
	s_barrier
	s_delay_alu instid0(VALU_DEP_1)
	v_cvt_f16_f32_e32 v41, v41
	v_cvt_f16_f32_e32 v42, v42
	v_cvt_f16_f32_e32 v43, v43
	v_cvt_f16_f32_e32 v44, v44
	v_cvt_f16_f32_e32 v45, v45
	v_cvt_f16_f32_e32 v46, v46
	v_cvt_f16_f32_e32 v47, v47
	v_cvt_f16_f32_e32 v48, v48
	ds_store_b16 v182, v41
	ds_store_b16 v182, v42 offset:128
	ds_store_b16 v182, v43 offset:256
	;; [unrolled: 1-line block ×7, first 2 shown]
	s_waitcnt lgkmcnt(0)
	s_barrier
	ds_load_2addr_b64 v[73:76], v175 offset1:1
	v_wmma_f32_16x16x16_f16 v[41:48], v[57:64], v[1:8], v[25:32]
	v_add_lshl_u32 v57, v78, s8, 1
	v_lshlrev_b32_e32 v61, 1, v0
	v_add_nc_u32_e32 v0, s8, v0
	s_delay_alu instid0(VALU_DEP_4) | instskip(NEXT) | instid1(VALU_DEP_2)
	v_wmma_f32_16x16x16_f16 v[41:48], v[81:88], v[9:16], v[41:48]
	v_add_nc_u32_e32 v62, 64, v0
	s_delay_alu instid0(VALU_DEP_2) | instskip(NEXT) | instid1(VALU_DEP_3)
	v_cvt_f16_f32_e32 v41, v41
	v_cvt_f16_f32_e32 v42, v42
	s_delay_alu instid0(VALU_DEP_4)
	v_cvt_f16_f32_e32 v43, v43
	v_cvt_f16_f32_e32 v44, v44
	v_cvt_f16_f32_e32 v45, v45
	v_cvt_f16_f32_e32 v46, v46
	v_cvt_f16_f32_e32 v47, v47
	v_cvt_f16_f32_e32 v48, v48
	v_lshlrev_b32_e32 v63, 1, v62
	s_waitcnt lgkmcnt(0)
	buffer_store_b128 v[73:76], v57, s[4:7], 0 offen
	s_waitcnt lgkmcnt(0)
	s_waitcnt_vscnt null, 0x0
	s_barrier
	ds_store_b16 v182, v41
	ds_store_b16 v182, v42 offset:128
	ds_store_b16 v182, v43 offset:256
	;; [unrolled: 1-line block ×7, first 2 shown]
	s_waitcnt lgkmcnt(0)
	s_barrier
	ds_load_2addr_b64 v[57:60], v175 offset1:1
	v_wmma_f32_16x16x16_f16 v[41:48], v[65:72], v[1:8], v[25:32]
	s_delay_alu instid0(VALU_DEP_1) | instskip(NEXT) | instid1(VALU_DEP_1)
	v_wmma_f32_16x16x16_f16 v[41:48], v[133:140], v[9:16], v[41:48]
	v_cvt_f16_f32_e32 v41, v41
	s_delay_alu instid0(VALU_DEP_2) | instskip(NEXT) | instid1(VALU_DEP_3)
	v_cvt_f16_f32_e32 v42, v42
	v_cvt_f16_f32_e32 v43, v43
	s_delay_alu instid0(VALU_DEP_4)
	v_cvt_f16_f32_e32 v44, v44
	v_cvt_f16_f32_e32 v45, v45
	;; [unrolled: 1-line block ×5, first 2 shown]
	s_waitcnt lgkmcnt(0)
	buffer_store_b128 v[57:60], v61, s[4:7], 0 offen
	s_waitcnt lgkmcnt(0)
	s_waitcnt_vscnt null, 0x0
	s_barrier
	ds_store_b16 v182, v41
	ds_store_b16 v182, v42 offset:128
	ds_store_b16 v182, v43 offset:256
	;; [unrolled: 1-line block ×7, first 2 shown]
	s_waitcnt lgkmcnt(0)
	s_barrier
	ds_load_2addr_b64 v[57:60], v175 offset1:1
	v_wmma_f32_16x16x16_f16 v[41:48], v[65:72], v[17:24], v[25:32]
	v_lshlrev_b32_e32 v61, 1, v0
	v_add_nc_u32_e32 v0, s8, v0
	s_delay_alu instid0(VALU_DEP_3) | instskip(NEXT) | instid1(VALU_DEP_1)
	v_wmma_f32_16x16x16_f16 v[41:48], v[133:140], v[33:40], v[41:48]
	v_cvt_f16_f32_e32 v41, v41
	s_delay_alu instid0(VALU_DEP_2) | instskip(NEXT) | instid1(VALU_DEP_3)
	v_cvt_f16_f32_e32 v42, v42
	v_cvt_f16_f32_e32 v43, v43
	s_delay_alu instid0(VALU_DEP_4)
	v_cvt_f16_f32_e32 v44, v44
	v_cvt_f16_f32_e32 v45, v45
	;; [unrolled: 1-line block ×5, first 2 shown]
	s_waitcnt lgkmcnt(0)
	buffer_store_b128 v[57:60], v61, s[4:7], 0 offen
	s_waitcnt lgkmcnt(0)
	s_waitcnt_vscnt null, 0x0
	s_barrier
	ds_store_b16 v182, v41
	ds_store_b16 v182, v42 offset:128
	ds_store_b16 v182, v43 offset:256
	;; [unrolled: 1-line block ×7, first 2 shown]
	s_waitcnt lgkmcnt(0)
	s_barrier
	ds_load_2addr_b64 v[57:60], v175 offset1:1
	v_wmma_f32_16x16x16_f16 v[41:48], v[49:56], v[17:24], v[25:32]
	s_waitcnt lgkmcnt(0)
	s_clause 0x1
	buffer_store_b64 v[57:58], v63, s[4:7], 0 offen
	buffer_store_b64 v[59:60], v61, s[4:7], 0 offen offset:136
	v_wmma_f32_16x16x16_f16 v[41:48], v[141:148], v[33:40], v[41:48]
	s_waitcnt lgkmcnt(0)
	s_waitcnt_vscnt null, 0x0
	s_barrier
	s_delay_alu instid0(VALU_DEP_1)
	v_cvt_f16_f32_e32 v41, v41
	v_cvt_f16_f32_e32 v42, v42
	;; [unrolled: 1-line block ×8, first 2 shown]
	ds_store_b16 v182, v41
	ds_store_b16 v182, v42 offset:128
	ds_store_b16 v182, v43 offset:256
	;; [unrolled: 1-line block ×7, first 2 shown]
	s_waitcnt lgkmcnt(0)
	s_barrier
	ds_load_2addr_b64 v[57:60], v175 offset1:1
	v_wmma_f32_16x16x16_f16 v[41:48], v[49:56], v[1:8], v[25:32]
	v_add_lshl_u32 v49, v62, s8, 1
	v_lshlrev_b32_e32 v53, 1, v0
	s_delay_alu instid0(VALU_DEP_3) | instskip(NEXT) | instid1(VALU_DEP_1)
	v_wmma_f32_16x16x16_f16 v[41:48], v[141:148], v[9:16], v[41:48]
	v_cvt_f16_f32_e32 v41, v41
	s_delay_alu instid0(VALU_DEP_2) | instskip(NEXT) | instid1(VALU_DEP_3)
	v_cvt_f16_f32_e32 v42, v42
	v_cvt_f16_f32_e32 v43, v43
	s_delay_alu instid0(VALU_DEP_4)
	v_cvt_f16_f32_e32 v44, v44
	v_cvt_f16_f32_e32 v45, v45
	;; [unrolled: 1-line block ×5, first 2 shown]
	s_waitcnt lgkmcnt(0)
	buffer_store_b128 v[57:60], v49, s[4:7], 0 offen
	s_waitcnt lgkmcnt(0)
	s_waitcnt_vscnt null, 0x0
	s_barrier
	ds_store_b16 v182, v41
	ds_store_b16 v182, v42 offset:128
	ds_store_b16 v182, v43 offset:256
	ds_store_b16 v182, v44 offset:384
	ds_store_b16 v182, v45 offset:512
	ds_store_b16 v182, v46 offset:640
	ds_store_b16 v182, v47 offset:768
	ds_store_b16 v182, v48 offset:896
	s_waitcnt lgkmcnt(0)
	s_barrier
	ds_load_2addr_b64 v[49:52], v175 offset1:1
	v_wmma_f32_16x16x16_f16 v[41:48], v[121:128], v[1:8], v[25:32]
	s_delay_alu instid0(VALU_DEP_1) | instskip(NEXT) | instid1(VALU_DEP_1)
	v_wmma_f32_16x16x16_f16 v[41:48], v[157:164], v[9:16], v[41:48]
	v_cvt_f16_f32_e32 v41, v41
	s_delay_alu instid0(VALU_DEP_2) | instskip(NEXT) | instid1(VALU_DEP_3)
	v_cvt_f16_f32_e32 v42, v42
	v_cvt_f16_f32_e32 v43, v43
	s_delay_alu instid0(VALU_DEP_4)
	v_cvt_f16_f32_e32 v44, v44
	v_cvt_f16_f32_e32 v45, v45
	;; [unrolled: 1-line block ×5, first 2 shown]
	s_waitcnt lgkmcnt(0)
	buffer_store_b128 v[49:52], v53, s[4:7], 0 offen
	s_waitcnt lgkmcnt(0)
	s_waitcnt_vscnt null, 0x0
	s_barrier
	ds_store_b16 v182, v41
	ds_store_b16 v182, v42 offset:128
	ds_store_b16 v182, v43 offset:256
	;; [unrolled: 1-line block ×7, first 2 shown]
	s_waitcnt lgkmcnt(0)
	s_barrier
	ds_load_2addr_b64 v[49:52], v175 offset1:1
	v_wmma_f32_16x16x16_f16 v[41:48], v[121:128], v[17:24], v[25:32]
	v_add_nc_u32_e32 v53, s8, v0
	s_delay_alu instid0(VALU_DEP_2) | instskip(NEXT) | instid1(VALU_DEP_2)
	v_wmma_f32_16x16x16_f16 v[41:48], v[157:164], v[33:40], v[41:48]
	v_lshlrev_b32_e32 v0, 1, v53
	v_add_nc_u32_e32 v54, 64, v53
	s_delay_alu instid0(VALU_DEP_3) | instskip(NEXT) | instid1(VALU_DEP_4)
	v_cvt_f16_f32_e32 v41, v41
	v_cvt_f16_f32_e32 v42, v42
	v_cvt_f16_f32_e32 v43, v43
	v_cvt_f16_f32_e32 v44, v44
	v_cvt_f16_f32_e32 v45, v45
	v_cvt_f16_f32_e32 v46, v46
	v_cvt_f16_f32_e32 v47, v47
	v_cvt_f16_f32_e32 v48, v48
	s_waitcnt lgkmcnt(0)
	buffer_store_b128 v[49:52], v0, s[4:7], 0 offen
	s_waitcnt lgkmcnt(0)
	s_waitcnt_vscnt null, 0x0
	s_barrier
	ds_store_b16 v182, v41
	ds_store_b16 v182, v42 offset:128
	ds_store_b16 v182, v43 offset:256
	;; [unrolled: 1-line block ×7, first 2 shown]
	s_waitcnt lgkmcnt(0)
	s_barrier
	ds_load_2addr_b64 v[49:52], v175 offset1:1
	v_wmma_f32_16x16x16_f16 v[41:48], v[149:156], v[1:8], v[25:32]
	v_wmma_f32_16x16x16_f16 v[25:32], v[149:156], v[17:24], v[25:32]
	v_lshlrev_b32_e32 v1, 1, v54
	s_waitcnt lgkmcnt(0)
	s_clause 0x1
	buffer_store_b64 v[49:50], v1, s[4:7], 0 offen
	buffer_store_b64 v[51:52], v0, s[4:7], 0 offen offset:136
	v_wmma_f32_16x16x16_f16 v[25:32], v[165:172], v[33:40], v[25:32]
	s_waitcnt lgkmcnt(0)
	s_waitcnt_vscnt null, 0x0
	s_barrier
	v_wmma_f32_16x16x16_f16 v[41:48], v[165:172], v[9:16], v[41:48]
	v_cvt_f16_f32_e32 v0, v25
	v_cvt_f16_f32_e32 v1, v26
	;; [unrolled: 1-line block ×8, first 2 shown]
	ds_store_b16 v182, v0
	ds_store_b16 v182, v1 offset:128
	ds_store_b16 v182, v2 offset:256
	;; [unrolled: 1-line block ×7, first 2 shown]
	s_waitcnt lgkmcnt(0)
	s_barrier
	ds_load_2addr_b64 v[0:3], v175 offset1:1
	v_add_lshl_u32 v4, v54, s8, 1
	v_cvt_f16_f32_e32 v5, v46
	v_cvt_f16_f32_e32 v6, v47
	;; [unrolled: 1-line block ×3, first 2 shown]
	s_waitcnt lgkmcnt(0)
	buffer_store_b128 v[0:3], v4, s[4:7], 0 offen
	v_cvt_f16_f32_e32 v0, v41
	v_cvt_f16_f32_e32 v1, v42
	;; [unrolled: 1-line block ×5, first 2 shown]
	s_waitcnt lgkmcnt(0)
	s_waitcnt_vscnt null, 0x0
	s_barrier
	ds_store_b16 v182, v0
	ds_store_b16 v182, v1 offset:128
	ds_store_b16 v182, v2 offset:256
	;; [unrolled: 1-line block ×7, first 2 shown]
	s_waitcnt lgkmcnt(0)
	s_barrier
	ds_load_2addr_b64 v[0:3], v175 offset1:1
	v_add_lshl_u32 v4, v53, s8, 1
	s_waitcnt lgkmcnt(0)
	buffer_store_b128 v[0:3], v4, s[4:7], 0 offen
                                        ; implicit-def: $vgpr0
	s_and_not1_saveexec_b32 s4, s12
	s_cbranch_execz .LBB4_2
.LBB4_4:
	s_load_b32 s12, s[0:1], 0x28
	v_and_b32_e32 v1, 0x1fc, v0
	v_and_b32_e32 v25, 3, v0
	s_clause 0x1
	s_load_b32 s8, s[0:1], 0x50
	s_load_b128 s[4:7], s[0:1], 0x0
	v_add_nc_u32_e32 v0, 0xffffff00, v0
	v_add_nc_u32_e32 v26, 0xffffff00, v1
	v_lshlrev_b32_e32 v17, 3, v25
	s_mov_b32 s11, 0x31004000
	v_mul_u32_u24_e32 v27, 0x1010, v25
	v_lshrrev_b32_e32 v0, 1, v0
	v_add_nc_u32_e32 v3, s3, v26
	s_clause 0x1
	s_load_b32 s3, s[0:1], 0x60
	s_load_b32 s0, s[0:1], 0x88
	v_mul_u32_u24_e32 v25, 0x810, v25
	v_and_b32_e32 v0, 0x7ffffffe, v0
	v_lshl_add_u32 v26, v26, 4, v27
	s_delay_alu instid0(VALU_DEP_2)
	v_add_nc_u32_e32 v20, s2, v0
	s_waitcnt lgkmcnt(0)
	v_mad_u64_u32 v[1:2], null, s12, v3, v[17:18]
	s_lshl_b32 s10, s8, 1
	s_mov_b32 s8, s4
	s_mov_b32 s9, s5
	v_lshl_add_u32 v0, v0, 4, v25
	s_delay_alu instid0(VALU_DEP_2) | instskip(SKIP_2) | instid1(VALU_DEP_3)
	v_add_nc_u32_e32 v2, s12, v1
	v_lshlrev_b32_e32 v1, 1, v1
	v_mad_u64_u32 v[18:19], null, s3, v20, v[17:18]
	v_lshlrev_b32_e32 v5, 1, v2
	buffer_load_b128 v[5:8], v5, s[8:11], 0 offen
	v_add_nc_u32_e32 v3, s12, v2
	v_lshlrev_b32_e32 v17, 1, v18
	v_add_lshl_u32 v21, v18, s3, 1
	s_delay_alu instid0(VALU_DEP_3)
	v_lshlrev_b32_e32 v9, 1, v3
	v_add_lshl_u32 v13, v3, s12, 1
	s_clause 0x2
	buffer_load_b128 v[1:4], v1, s[8:11], 0 offen
	buffer_load_b128 v[9:12], v9, s[8:11], 0 offen
	;; [unrolled: 1-line block ×3, first 2 shown]
	s_lshl_b32 s10, s0, 1
	s_mov_b32 s8, s6
	s_mov_b32 s9, s7
	; sched_group_barrier mask(0x00000020) size(4) SyncID(0)
	s_clause 0x1
	buffer_load_b128 v[17:20], v17, s[8:11], 0 offen
	buffer_load_b128 v[21:24], v21, s[8:11], 0 offen
	; sched_group_barrier mask(0x00000020) size(4) SyncID(0)
	; sched_group_barrier mask(0x00000002) size(8) SyncID(0)
	s_waitcnt vmcnt(5)
	ds_store_b128 v26, v[5:8] offset:16
	s_waitcnt vmcnt(4)
	ds_store_b128 v26, v[1:4]
	s_waitcnt vmcnt(3)
	ds_store_b128 v26, v[9:12] offset:32
	s_waitcnt vmcnt(2)
	ds_store_b128 v26, v[13:16] offset:48
	;; [unrolled: 2-line block ×4, first 2 shown]
	s_waitcnt lgkmcnt(0)
	s_waitcnt_vscnt null, 0x0
	s_barrier
	s_waitcnt lgkmcnt(0)
	s_barrier
	s_waitcnt lgkmcnt(0)
	s_barrier
	s_endpgm
	.section	.rodata,"a",@progbits
	.p2align	6, 0x0
	.amdhsa_kernel _ZN2ck37kernel_gemm_xdl_waveletmodel_cshuffleINS_53GridwiseGemm_k0mk1_k0nk1_mn_xdl_waveletmodel_cshuffleIDF16_fDF16_DF16_NS_16tensor_operation12element_wise11PassThroughES4_S4_LNS_25InMemoryDataOperationEnumE0ENS_16TensorDescriptorINS_5TupleIJNS_5EmbedINS7_IJiiEEENS7_IJiNS_17integral_constantIiLi1EEEEEELb0EEENS_11PassThroughIiEESF_EEENS7_IJNS_8SequenceIJLi0EEEENSH_IJLi1EEEENSH_IJLi2EEEEEEENS7_IJNSH_IJLi1ELi2EEEENSH_IJLi3EEEENSH_IJLi4EEEEEEENSH_IJLi3ELi4EEEElEESR_SR_Li1ELi256ELi256ELi256ELi128ELi32ELi8ELi8ELi16ELi16ELi8ELi2ENSH_IJLi4ELi64ELi1EEEENSH_IJLi1ELi0ELi2EEEEST_Li2ELi8ELi8ELb0ELi1ESS_ST_ST_Li2ELi8ELi8ELb0ELi1ELi1ELi1ENSH_IJLi1ELi32ELi1ELi8EEEELi4EEEDF16_DF16_S4_S4_S4_NS6_INS7_IJSD_SF_SF_NS_7UnMergeINS7_IJiNSA_IiLi8EEEEEELb0EEESF_EEENS7_IJSI_SJ_SK_SO_SN_EEENS7_IJSM_SN_SO_NSH_IJLi5ELi6EEEENSH_IJLi7EEEEEEENSH_IJLi5ELi7ELi6EEEElEES16_NS6_INS7_IJSD_SF_SF_NSW_INS7_IJiNSA_IiLi256EEEEEELb0EEENSW_INS7_IJiNSA_IiLi128EEEEEELb0EEEEEENS7_IJSI_SJ_SK_SN_SO_EEENS7_IJSM_SN_SO_S12_NSH_IJLi7ELi8EEEEEEENSH_IJLi5ELi6ELi7ELi8EEEElEENS_13TensorAdaptorINS7_IJNSW_ISC_Lb0EEES1K_NS_23Merge_v2_magic_divisionINS7_IJiiSB_SB_EEEEEEEENS7_IJSI_SJ_NSH_IJLi2ELi3ELi4ELi5EEEEEEENS7_IJNSH_IJLi2ELi4EEEENSH_IJLi3ELi5EEEENSH_IJLi6EEEEEEENSH_IJLi0ELi1EEEES1T_EELb0EEEvPKT0_S1Z_PT1_T2_T3_T4_T5_T6_T7_T8_
		.amdhsa_group_segment_fixed_size 24672
		.amdhsa_private_segment_fixed_size 0
		.amdhsa_kernarg_size 276
		.amdhsa_user_sgpr_count 15
		.amdhsa_user_sgpr_dispatch_ptr 0
		.amdhsa_user_sgpr_queue_ptr 0
		.amdhsa_user_sgpr_kernarg_segment_ptr 1
		.amdhsa_user_sgpr_dispatch_id 0
		.amdhsa_user_sgpr_private_segment_size 0
		.amdhsa_wavefront_size32 1
		.amdhsa_uses_dynamic_stack 0
		.amdhsa_enable_private_segment 0
		.amdhsa_system_sgpr_workgroup_id_x 1
		.amdhsa_system_sgpr_workgroup_id_y 0
		.amdhsa_system_sgpr_workgroup_id_z 0
		.amdhsa_system_sgpr_workgroup_info 0
		.amdhsa_system_vgpr_workitem_id 0
		.amdhsa_next_free_vgpr 183
		.amdhsa_next_free_sgpr 16
		.amdhsa_reserve_vcc 0
		.amdhsa_float_round_mode_32 0
		.amdhsa_float_round_mode_16_64 0
		.amdhsa_float_denorm_mode_32 3
		.amdhsa_float_denorm_mode_16_64 3
		.amdhsa_dx10_clamp 1
		.amdhsa_ieee_mode 1
		.amdhsa_fp16_overflow 0
		.amdhsa_workgroup_processor_mode 1
		.amdhsa_memory_ordered 1
		.amdhsa_forward_progress 0
		.amdhsa_shared_vgpr_count 0
		.amdhsa_exception_fp_ieee_invalid_op 0
		.amdhsa_exception_fp_denorm_src 0
		.amdhsa_exception_fp_ieee_div_zero 0
		.amdhsa_exception_fp_ieee_overflow 0
		.amdhsa_exception_fp_ieee_underflow 0
		.amdhsa_exception_fp_ieee_inexact 0
		.amdhsa_exception_int_div_zero 0
	.end_amdhsa_kernel
	.section	.text._ZN2ck37kernel_gemm_xdl_waveletmodel_cshuffleINS_53GridwiseGemm_k0mk1_k0nk1_mn_xdl_waveletmodel_cshuffleIDF16_fDF16_DF16_NS_16tensor_operation12element_wise11PassThroughES4_S4_LNS_25InMemoryDataOperationEnumE0ENS_16TensorDescriptorINS_5TupleIJNS_5EmbedINS7_IJiiEEENS7_IJiNS_17integral_constantIiLi1EEEEEELb0EEENS_11PassThroughIiEESF_EEENS7_IJNS_8SequenceIJLi0EEEENSH_IJLi1EEEENSH_IJLi2EEEEEEENS7_IJNSH_IJLi1ELi2EEEENSH_IJLi3EEEENSH_IJLi4EEEEEEENSH_IJLi3ELi4EEEElEESR_SR_Li1ELi256ELi256ELi256ELi128ELi32ELi8ELi8ELi16ELi16ELi8ELi2ENSH_IJLi4ELi64ELi1EEEENSH_IJLi1ELi0ELi2EEEEST_Li2ELi8ELi8ELb0ELi1ESS_ST_ST_Li2ELi8ELi8ELb0ELi1ELi1ELi1ENSH_IJLi1ELi32ELi1ELi8EEEELi4EEEDF16_DF16_S4_S4_S4_NS6_INS7_IJSD_SF_SF_NS_7UnMergeINS7_IJiNSA_IiLi8EEEEEELb0EEESF_EEENS7_IJSI_SJ_SK_SO_SN_EEENS7_IJSM_SN_SO_NSH_IJLi5ELi6EEEENSH_IJLi7EEEEEEENSH_IJLi5ELi7ELi6EEEElEES16_NS6_INS7_IJSD_SF_SF_NSW_INS7_IJiNSA_IiLi256EEEEEELb0EEENSW_INS7_IJiNSA_IiLi128EEEEEELb0EEEEEENS7_IJSI_SJ_SK_SN_SO_EEENS7_IJSM_SN_SO_S12_NSH_IJLi7ELi8EEEEEEENSH_IJLi5ELi6ELi7ELi8EEEElEENS_13TensorAdaptorINS7_IJNSW_ISC_Lb0EEES1K_NS_23Merge_v2_magic_divisionINS7_IJiiSB_SB_EEEEEEEENS7_IJSI_SJ_NSH_IJLi2ELi3ELi4ELi5EEEEEEENS7_IJNSH_IJLi2ELi4EEEENSH_IJLi3ELi5EEEENSH_IJLi6EEEEEEENSH_IJLi0ELi1EEEES1T_EELb0EEEvPKT0_S1Z_PT1_T2_T3_T4_T5_T6_T7_T8_,"axG",@progbits,_ZN2ck37kernel_gemm_xdl_waveletmodel_cshuffleINS_53GridwiseGemm_k0mk1_k0nk1_mn_xdl_waveletmodel_cshuffleIDF16_fDF16_DF16_NS_16tensor_operation12element_wise11PassThroughES4_S4_LNS_25InMemoryDataOperationEnumE0ENS_16TensorDescriptorINS_5TupleIJNS_5EmbedINS7_IJiiEEENS7_IJiNS_17integral_constantIiLi1EEEEEELb0EEENS_11PassThroughIiEESF_EEENS7_IJNS_8SequenceIJLi0EEEENSH_IJLi1EEEENSH_IJLi2EEEEEEENS7_IJNSH_IJLi1ELi2EEEENSH_IJLi3EEEENSH_IJLi4EEEEEEENSH_IJLi3ELi4EEEElEESR_SR_Li1ELi256ELi256ELi256ELi128ELi32ELi8ELi8ELi16ELi16ELi8ELi2ENSH_IJLi4ELi64ELi1EEEENSH_IJLi1ELi0ELi2EEEEST_Li2ELi8ELi8ELb0ELi1ESS_ST_ST_Li2ELi8ELi8ELb0ELi1ELi1ELi1ENSH_IJLi1ELi32ELi1ELi8EEEELi4EEEDF16_DF16_S4_S4_S4_NS6_INS7_IJSD_SF_SF_NS_7UnMergeINS7_IJiNSA_IiLi8EEEEEELb0EEESF_EEENS7_IJSI_SJ_SK_SO_SN_EEENS7_IJSM_SN_SO_NSH_IJLi5ELi6EEEENSH_IJLi7EEEEEEENSH_IJLi5ELi7ELi6EEEElEES16_NS6_INS7_IJSD_SF_SF_NSW_INS7_IJiNSA_IiLi256EEEEEELb0EEENSW_INS7_IJiNSA_IiLi128EEEEEELb0EEEEEENS7_IJSI_SJ_SK_SN_SO_EEENS7_IJSM_SN_SO_S12_NSH_IJLi7ELi8EEEEEEENSH_IJLi5ELi6ELi7ELi8EEEElEENS_13TensorAdaptorINS7_IJNSW_ISC_Lb0EEES1K_NS_23Merge_v2_magic_divisionINS7_IJiiSB_SB_EEEEEEEENS7_IJSI_SJ_NSH_IJLi2ELi3ELi4ELi5EEEEEEENS7_IJNSH_IJLi2ELi4EEEENSH_IJLi3ELi5EEEENSH_IJLi6EEEEEEENSH_IJLi0ELi1EEEES1T_EELb0EEEvPKT0_S1Z_PT1_T2_T3_T4_T5_T6_T7_T8_,comdat
.Lfunc_end4:
	.size	_ZN2ck37kernel_gemm_xdl_waveletmodel_cshuffleINS_53GridwiseGemm_k0mk1_k0nk1_mn_xdl_waveletmodel_cshuffleIDF16_fDF16_DF16_NS_16tensor_operation12element_wise11PassThroughES4_S4_LNS_25InMemoryDataOperationEnumE0ENS_16TensorDescriptorINS_5TupleIJNS_5EmbedINS7_IJiiEEENS7_IJiNS_17integral_constantIiLi1EEEEEELb0EEENS_11PassThroughIiEESF_EEENS7_IJNS_8SequenceIJLi0EEEENSH_IJLi1EEEENSH_IJLi2EEEEEEENS7_IJNSH_IJLi1ELi2EEEENSH_IJLi3EEEENSH_IJLi4EEEEEEENSH_IJLi3ELi4EEEElEESR_SR_Li1ELi256ELi256ELi256ELi128ELi32ELi8ELi8ELi16ELi16ELi8ELi2ENSH_IJLi4ELi64ELi1EEEENSH_IJLi1ELi0ELi2EEEEST_Li2ELi8ELi8ELb0ELi1ESS_ST_ST_Li2ELi8ELi8ELb0ELi1ELi1ELi1ENSH_IJLi1ELi32ELi1ELi8EEEELi4EEEDF16_DF16_S4_S4_S4_NS6_INS7_IJSD_SF_SF_NS_7UnMergeINS7_IJiNSA_IiLi8EEEEEELb0EEESF_EEENS7_IJSI_SJ_SK_SO_SN_EEENS7_IJSM_SN_SO_NSH_IJLi5ELi6EEEENSH_IJLi7EEEEEEENSH_IJLi5ELi7ELi6EEEElEES16_NS6_INS7_IJSD_SF_SF_NSW_INS7_IJiNSA_IiLi256EEEEEELb0EEENSW_INS7_IJiNSA_IiLi128EEEEEELb0EEEEEENS7_IJSI_SJ_SK_SN_SO_EEENS7_IJSM_SN_SO_S12_NSH_IJLi7ELi8EEEEEEENSH_IJLi5ELi6ELi7ELi8EEEElEENS_13TensorAdaptorINS7_IJNSW_ISC_Lb0EEES1K_NS_23Merge_v2_magic_divisionINS7_IJiiSB_SB_EEEEEEEENS7_IJSI_SJ_NSH_IJLi2ELi3ELi4ELi5EEEEEEENS7_IJNSH_IJLi2ELi4EEEENSH_IJLi3ELi5EEEENSH_IJLi6EEEEEEENSH_IJLi0ELi1EEEES1T_EELb0EEEvPKT0_S1Z_PT1_T2_T3_T4_T5_T6_T7_T8_, .Lfunc_end4-_ZN2ck37kernel_gemm_xdl_waveletmodel_cshuffleINS_53GridwiseGemm_k0mk1_k0nk1_mn_xdl_waveletmodel_cshuffleIDF16_fDF16_DF16_NS_16tensor_operation12element_wise11PassThroughES4_S4_LNS_25InMemoryDataOperationEnumE0ENS_16TensorDescriptorINS_5TupleIJNS_5EmbedINS7_IJiiEEENS7_IJiNS_17integral_constantIiLi1EEEEEELb0EEENS_11PassThroughIiEESF_EEENS7_IJNS_8SequenceIJLi0EEEENSH_IJLi1EEEENSH_IJLi2EEEEEEENS7_IJNSH_IJLi1ELi2EEEENSH_IJLi3EEEENSH_IJLi4EEEEEEENSH_IJLi3ELi4EEEElEESR_SR_Li1ELi256ELi256ELi256ELi128ELi32ELi8ELi8ELi16ELi16ELi8ELi2ENSH_IJLi4ELi64ELi1EEEENSH_IJLi1ELi0ELi2EEEEST_Li2ELi8ELi8ELb0ELi1ESS_ST_ST_Li2ELi8ELi8ELb0ELi1ELi1ELi1ENSH_IJLi1ELi32ELi1ELi8EEEELi4EEEDF16_DF16_S4_S4_S4_NS6_INS7_IJSD_SF_SF_NS_7UnMergeINS7_IJiNSA_IiLi8EEEEEELb0EEESF_EEENS7_IJSI_SJ_SK_SO_SN_EEENS7_IJSM_SN_SO_NSH_IJLi5ELi6EEEENSH_IJLi7EEEEEEENSH_IJLi5ELi7ELi6EEEElEES16_NS6_INS7_IJSD_SF_SF_NSW_INS7_IJiNSA_IiLi256EEEEEELb0EEENSW_INS7_IJiNSA_IiLi128EEEEEELb0EEEEEENS7_IJSI_SJ_SK_SN_SO_EEENS7_IJSM_SN_SO_S12_NSH_IJLi7ELi8EEEEEEENSH_IJLi5ELi6ELi7ELi8EEEElEENS_13TensorAdaptorINS7_IJNSW_ISC_Lb0EEES1K_NS_23Merge_v2_magic_divisionINS7_IJiiSB_SB_EEEEEEEENS7_IJSI_SJ_NSH_IJLi2ELi3ELi4ELi5EEEEEEENS7_IJNSH_IJLi2ELi4EEEENSH_IJLi3ELi5EEEENSH_IJLi6EEEEEEENSH_IJLi0ELi1EEEES1T_EELb0EEEvPKT0_S1Z_PT1_T2_T3_T4_T5_T6_T7_T8_
                                        ; -- End function
	.section	.AMDGPU.csdata,"",@progbits
; Kernel info:
; codeLenInByte = 3828
; NumSgprs: 16
; NumVgprs: 183
; ScratchSize: 0
; MemoryBound: 0
; FloatMode: 240
; IeeeMode: 1
; LDSByteSize: 24672 bytes/workgroup (compile time only)
; SGPRBlocks: 1
; VGPRBlocks: 22
; NumSGPRsForWavesPerEU: 16
; NumVGPRsForWavesPerEU: 183
; Occupancy: 8
; WaveLimiterHint : 0
; COMPUTE_PGM_RSRC2:SCRATCH_EN: 0
; COMPUTE_PGM_RSRC2:USER_SGPR: 15
; COMPUTE_PGM_RSRC2:TRAP_HANDLER: 0
; COMPUTE_PGM_RSRC2:TGID_X_EN: 1
; COMPUTE_PGM_RSRC2:TGID_Y_EN: 0
; COMPUTE_PGM_RSRC2:TGID_Z_EN: 0
; COMPUTE_PGM_RSRC2:TIDIG_COMP_CNT: 0
	.section	.text._ZN2ck17naive_gemm_kernelINS_13tensor_layout4gemm8RowMajorENS2_11ColumnMajorES3_DF16_DF16_DF16_fNS_16tensor_operation12element_wise11PassThroughES7_S7_DF16_DF16_EEvPKT2_PKT3_PT4_iiiT6_T7_T8_,"axG",@progbits,_ZN2ck17naive_gemm_kernelINS_13tensor_layout4gemm8RowMajorENS2_11ColumnMajorES3_DF16_DF16_DF16_fNS_16tensor_operation12element_wise11PassThroughES7_S7_DF16_DF16_EEvPKT2_PKT3_PT4_iiiT6_T7_T8_,comdat
	.protected	_ZN2ck17naive_gemm_kernelINS_13tensor_layout4gemm8RowMajorENS2_11ColumnMajorES3_DF16_DF16_DF16_fNS_16tensor_operation12element_wise11PassThroughES7_S7_DF16_DF16_EEvPKT2_PKT3_PT4_iiiT6_T7_T8_ ; -- Begin function _ZN2ck17naive_gemm_kernelINS_13tensor_layout4gemm8RowMajorENS2_11ColumnMajorES3_DF16_DF16_DF16_fNS_16tensor_operation12element_wise11PassThroughES7_S7_DF16_DF16_EEvPKT2_PKT3_PT4_iiiT6_T7_T8_
	.globl	_ZN2ck17naive_gemm_kernelINS_13tensor_layout4gemm8RowMajorENS2_11ColumnMajorES3_DF16_DF16_DF16_fNS_16tensor_operation12element_wise11PassThroughES7_S7_DF16_DF16_EEvPKT2_PKT3_PT4_iiiT6_T7_T8_
	.p2align	8
	.type	_ZN2ck17naive_gemm_kernelINS_13tensor_layout4gemm8RowMajorENS2_11ColumnMajorES3_DF16_DF16_DF16_fNS_16tensor_operation12element_wise11PassThroughES7_S7_DF16_DF16_EEvPKT2_PKT3_PT4_iiiT6_T7_T8_,@function
_ZN2ck17naive_gemm_kernelINS_13tensor_layout4gemm8RowMajorENS2_11ColumnMajorES3_DF16_DF16_DF16_fNS_16tensor_operation12element_wise11PassThroughES7_S7_DF16_DF16_EEvPKT2_PKT3_PT4_iiiT6_T7_T8_: ; @_ZN2ck17naive_gemm_kernelINS_13tensor_layout4gemm8RowMajorENS2_11ColumnMajorES3_DF16_DF16_DF16_fNS_16tensor_operation12element_wise11PassThroughES7_S7_DF16_DF16_EEvPKT2_PKT3_PT4_iiiT6_T7_T8_
; %bb.0:
	s_clause 0x1
	s_load_b32 s2, s[0:1], 0x34
	s_load_b128 s[4:7], s[0:1], 0x18
	v_and_b32_e32 v2, 0x3ff, v0
	v_bfe_u32 v3, v0, 10, 10
	s_waitcnt lgkmcnt(0)
	s_lshr_b32 s3, s2, 16
	s_and_b32 s2, s2, 0xffff
	s_delay_alu instid0(VALU_DEP_1) | instid1(SALU_CYCLE_1)
	v_mad_u64_u32 v[0:1], null, s14, s2, v[2:3]
	v_mad_u64_u32 v[1:2], null, s15, s3, v[3:4]
	s_delay_alu instid0(VALU_DEP_2) | instskip(NEXT) | instid1(VALU_DEP_2)
	v_cmp_gt_i32_e32 vcc_lo, s4, v0
	v_cmp_gt_i32_e64 s2, s5, v1
	s_delay_alu instid0(VALU_DEP_1) | instskip(NEXT) | instid1(SALU_CYCLE_1)
	s_and_b32 s2, vcc_lo, s2
	s_and_saveexec_b32 s3, s2
	s_cbranch_execz .LBB5_7
; %bb.1:
	s_load_b64 s[2:3], s[0:1], 0x10
	s_cmp_lt_i32 s6, 1
	s_cbranch_scc1 .LBB5_5
; %bb.2:
	s_load_b128 s[8:11], s[0:1], 0x0
	v_mul_lo_u32 v2, v1, s6
	v_mul_lo_u32 v4, v0, s6
	v_mov_b32_e32 v6, 0
	s_delay_alu instid0(VALU_DEP_3) | instskip(NEXT) | instid1(VALU_DEP_3)
	v_ashrrev_i32_e32 v3, 31, v2
	v_ashrrev_i32_e32 v5, 31, v4
	s_delay_alu instid0(VALU_DEP_2) | instskip(NEXT) | instid1(VALU_DEP_2)
	v_lshlrev_b64 v[2:3], 1, v[2:3]
	v_lshlrev_b64 v[4:5], 1, v[4:5]
	s_waitcnt lgkmcnt(0)
	s_delay_alu instid0(VALU_DEP_2) | instskip(NEXT) | instid1(VALU_DEP_3)
	v_add_co_u32 v2, vcc_lo, s10, v2
	v_add_co_ci_u32_e32 v3, vcc_lo, s11, v3, vcc_lo
	s_delay_alu instid0(VALU_DEP_3) | instskip(NEXT) | instid1(VALU_DEP_4)
	v_add_co_u32 v4, vcc_lo, s8, v4
	v_add_co_ci_u32_e32 v5, vcc_lo, s9, v5, vcc_lo
.LBB5_3:                                ; =>This Inner Loop Header: Depth=1
	global_load_u16 v7, v[4:5], off
	global_load_u16 v8, v[2:3], off
	v_add_co_u32 v2, vcc_lo, v2, 2
	v_add_co_ci_u32_e32 v3, vcc_lo, 0, v3, vcc_lo
	v_add_co_u32 v4, vcc_lo, v4, 2
	v_add_co_ci_u32_e32 v5, vcc_lo, 0, v5, vcc_lo
	s_add_i32 s6, s6, -1
	s_delay_alu instid0(SALU_CYCLE_1)
	s_cmp_eq_u32 s6, 0
	s_waitcnt vmcnt(0)
	v_fma_mix_f32 v6, v7, v8, v6 op_sel_hi:[1,1,0]
	s_cbranch_scc0 .LBB5_3
; %bb.4:
	s_delay_alu instid0(VALU_DEP_1)
	v_cvt_f16_f32_e32 v2, v6
	s_branch .LBB5_6
.LBB5_5:
	v_mov_b32_e32 v2, 0
.LBB5_6:
	s_delay_alu instid0(VALU_DEP_1) | instskip(NEXT) | instid1(VALU_DEP_1)
	v_mad_u64_u32 v[3:4], null, v0, s5, v[1:2]
	v_ashrrev_i32_e32 v4, 31, v3
	s_delay_alu instid0(VALU_DEP_1) | instskip(SKIP_1) | instid1(VALU_DEP_1)
	v_lshlrev_b64 v[0:1], 1, v[3:4]
	s_waitcnt lgkmcnt(0)
	v_add_co_u32 v0, vcc_lo, s2, v0
	s_delay_alu instid0(VALU_DEP_2)
	v_add_co_ci_u32_e32 v1, vcc_lo, s3, v1, vcc_lo
	global_store_b16 v[0:1], v2, off
.LBB5_7:
	s_nop 0
	s_sendmsg sendmsg(MSG_DEALLOC_VGPRS)
	s_endpgm
	.section	.rodata,"a",@progbits
	.p2align	6, 0x0
	.amdhsa_kernel _ZN2ck17naive_gemm_kernelINS_13tensor_layout4gemm8RowMajorENS2_11ColumnMajorES3_DF16_DF16_DF16_fNS_16tensor_operation12element_wise11PassThroughES7_S7_DF16_DF16_EEvPKT2_PKT3_PT4_iiiT6_T7_T8_
		.amdhsa_group_segment_fixed_size 0
		.amdhsa_private_segment_fixed_size 0
		.amdhsa_kernarg_size 296
		.amdhsa_user_sgpr_count 14
		.amdhsa_user_sgpr_dispatch_ptr 0
		.amdhsa_user_sgpr_queue_ptr 0
		.amdhsa_user_sgpr_kernarg_segment_ptr 1
		.amdhsa_user_sgpr_dispatch_id 0
		.amdhsa_user_sgpr_private_segment_size 0
		.amdhsa_wavefront_size32 1
		.amdhsa_uses_dynamic_stack 0
		.amdhsa_enable_private_segment 0
		.amdhsa_system_sgpr_workgroup_id_x 1
		.amdhsa_system_sgpr_workgroup_id_y 1
		.amdhsa_system_sgpr_workgroup_id_z 0
		.amdhsa_system_sgpr_workgroup_info 0
		.amdhsa_system_vgpr_workitem_id 1
		.amdhsa_next_free_vgpr 9
		.amdhsa_next_free_sgpr 16
		.amdhsa_reserve_vcc 1
		.amdhsa_float_round_mode_32 0
		.amdhsa_float_round_mode_16_64 0
		.amdhsa_float_denorm_mode_32 3
		.amdhsa_float_denorm_mode_16_64 3
		.amdhsa_dx10_clamp 1
		.amdhsa_ieee_mode 1
		.amdhsa_fp16_overflow 0
		.amdhsa_workgroup_processor_mode 1
		.amdhsa_memory_ordered 1
		.amdhsa_forward_progress 0
		.amdhsa_shared_vgpr_count 0
		.amdhsa_exception_fp_ieee_invalid_op 0
		.amdhsa_exception_fp_denorm_src 0
		.amdhsa_exception_fp_ieee_div_zero 0
		.amdhsa_exception_fp_ieee_overflow 0
		.amdhsa_exception_fp_ieee_underflow 0
		.amdhsa_exception_fp_ieee_inexact 0
		.amdhsa_exception_int_div_zero 0
	.end_amdhsa_kernel
	.section	.text._ZN2ck17naive_gemm_kernelINS_13tensor_layout4gemm8RowMajorENS2_11ColumnMajorES3_DF16_DF16_DF16_fNS_16tensor_operation12element_wise11PassThroughES7_S7_DF16_DF16_EEvPKT2_PKT3_PT4_iiiT6_T7_T8_,"axG",@progbits,_ZN2ck17naive_gemm_kernelINS_13tensor_layout4gemm8RowMajorENS2_11ColumnMajorES3_DF16_DF16_DF16_fNS_16tensor_operation12element_wise11PassThroughES7_S7_DF16_DF16_EEvPKT2_PKT3_PT4_iiiT6_T7_T8_,comdat
.Lfunc_end5:
	.size	_ZN2ck17naive_gemm_kernelINS_13tensor_layout4gemm8RowMajorENS2_11ColumnMajorES3_DF16_DF16_DF16_fNS_16tensor_operation12element_wise11PassThroughES7_S7_DF16_DF16_EEvPKT2_PKT3_PT4_iiiT6_T7_T8_, .Lfunc_end5-_ZN2ck17naive_gemm_kernelINS_13tensor_layout4gemm8RowMajorENS2_11ColumnMajorES3_DF16_DF16_DF16_fNS_16tensor_operation12element_wise11PassThroughES7_S7_DF16_DF16_EEvPKT2_PKT3_PT4_iiiT6_T7_T8_
                                        ; -- End function
	.section	.AMDGPU.csdata,"",@progbits
; Kernel info:
; codeLenInByte = 368
; NumSgprs: 18
; NumVgprs: 9
; ScratchSize: 0
; MemoryBound: 0
; FloatMode: 240
; IeeeMode: 1
; LDSByteSize: 0 bytes/workgroup (compile time only)
; SGPRBlocks: 2
; VGPRBlocks: 1
; NumSGPRsForWavesPerEU: 18
; NumVGPRsForWavesPerEU: 9
; Occupancy: 16
; WaveLimiterHint : 0
; COMPUTE_PGM_RSRC2:SCRATCH_EN: 0
; COMPUTE_PGM_RSRC2:USER_SGPR: 14
; COMPUTE_PGM_RSRC2:TRAP_HANDLER: 0
; COMPUTE_PGM_RSRC2:TGID_X_EN: 1
; COMPUTE_PGM_RSRC2:TGID_Y_EN: 1
; COMPUTE_PGM_RSRC2:TGID_Z_EN: 0
; COMPUTE_PGM_RSRC2:TIDIG_COMP_CNT: 1
	.text
	.p2alignl 7, 3214868480
	.fill 96, 4, 3214868480
	.type	__hip_cuid_42d4eb2c2316ca5b,@object ; @__hip_cuid_42d4eb2c2316ca5b
	.section	.bss,"aw",@nobits
	.globl	__hip_cuid_42d4eb2c2316ca5b
__hip_cuid_42d4eb2c2316ca5b:
	.byte	0                               ; 0x0
	.size	__hip_cuid_42d4eb2c2316ca5b, 1

	.ident	"AMD clang version 19.0.0git (https://github.com/RadeonOpenCompute/llvm-project roc-6.4.0 25133 c7fe45cf4b819c5991fe208aaa96edf142730f1d)"
	.section	".note.GNU-stack","",@progbits
	.addrsig
	.addrsig_sym __hip_cuid_42d4eb2c2316ca5b
	.amdgpu_metadata
---
amdhsa.kernels:
  - .args:           []
    .group_segment_fixed_size: 0
    .kernarg_segment_align: 4
    .kernarg_segment_size: 0
    .language:       OpenCL C
    .language_version:
      - 2
      - 0
    .max_flat_workgroup_size: 1024
    .name:           _ZN2ckL12flush_icacheEv
    .private_segment_fixed_size: 0
    .sgpr_count:     0
    .sgpr_spill_count: 0
    .symbol:         _ZN2ckL12flush_icacheEv.kd
    .uniform_work_group_size: 1
    .uses_dynamic_stack: false
    .vgpr_count:     0
    .vgpr_spill_count: 0
    .wavefront_size: 32
    .workgroup_processor_mode: 1
  - .args:
      - .actual_access:  read_only
        .address_space:  global
        .offset:         0
        .size:           8
        .value_kind:     global_buffer
      - .actual_access:  read_only
        .address_space:  global
        .offset:         8
        .size:           8
        .value_kind:     global_buffer
      - .actual_access:  read_only
        .address_space:  global
        .offset:         16
        .size:           8
        .value_kind:     global_buffer
      - .offset:         24
        .size:           1
        .value_kind:     by_value
      - .offset:         25
        .size:           1
        .value_kind:     by_value
      - .offset:         26
        .size:           1
        .value_kind:     by_value
      - .offset:         32
        .size:           56
        .value_kind:     by_value
      - .offset:         88
        .size:           56
        .value_kind:     by_value
      - .offset:         144
        .size:           64
        .value_kind:     by_value
      - .offset:         208
        .size:           68
        .value_kind:     by_value
    .group_segment_fixed_size: 0
    .kernarg_segment_align: 8
    .kernarg_segment_size: 276
    .language:       OpenCL C
    .language_version:
      - 2
      - 0
    .max_flat_workgroup_size: 512
    .name:           _ZN2ck37kernel_gemm_xdl_waveletmodel_cshuffleINS_53GridwiseGemm_k0mk1_k0nk1_mn_xdl_waveletmodel_cshuffleIDF16_fDF16_DF16_NS_16tensor_operation12element_wise11PassThroughES4_S4_LNS_25InMemoryDataOperationEnumE0ENS_16TensorDescriptorINS_5TupleIJNS_5EmbedINS7_IJiiEEENS7_IJiNS_17integral_constantIiLi1EEEEEELb0EEENS_11PassThroughIiEESF_EEENS7_IJNS_8SequenceIJLi0EEEENSH_IJLi1EEEENSH_IJLi2EEEEEEENS7_IJNSH_IJLi1ELi2EEEENSH_IJLi3EEEENSH_IJLi4EEEEEEENSH_IJLi3ELi4EEEElEESR_SR_Li1ELi256ELi256ELi256ELi128ELi32ELi8ELi8ELi16ELi16ELi8ELi4ENSH_IJLi4ELi64ELi1EEEENSH_IJLi1ELi0ELi2EEEEST_Li2ELi8ELi8ELb0ELi1ESS_ST_ST_Li2ELi8ELi8ELb0ELi1ELi1ELi1ENSH_IJLi1ELi32ELi1ELi8EEEELi4EEEDF16_DF16_S4_S4_S4_NS6_INS7_IJSD_SF_SF_NS_7UnMergeINS7_IJiNSA_IiLi8EEEEEELb0EEESF_EEENS7_IJSI_SJ_SK_SO_SN_EEENS7_IJSM_SN_SO_NSH_IJLi5ELi6EEEENSH_IJLi7EEEEEEENSH_IJLi5ELi7ELi6EEEElEES16_NS6_INS7_IJSD_SF_SF_NSW_INS7_IJiNSA_IiLi256EEEEEELb0EEENSW_INS7_IJiNSA_IiLi128EEEEEELb0EEEEEENS7_IJSI_SJ_SK_SN_SO_EEENS7_IJSM_SN_SO_S12_NSH_IJLi7ELi8EEEEEEENSH_IJLi5ELi6ELi7ELi8EEEElEENS_13TensorAdaptorINS7_IJNSW_ISC_Lb0EEES1K_NS_23Merge_v2_magic_divisionINS7_IJiiSB_SB_EEEEEEEENS7_IJSI_SJ_NSH_IJLi2ELi3ELi4ELi5EEEEEEENS7_IJNSH_IJLi2ELi4EEEENSH_IJLi3ELi5EEEENSH_IJLi6EEEEEEENSH_IJLi0ELi1EEEES1T_EELb1EEEvPKT0_S1Z_PT1_T2_T3_T4_T5_T6_T7_T8_
    .private_segment_fixed_size: 0
    .sgpr_count:     0
    .sgpr_spill_count: 0
    .symbol:         _ZN2ck37kernel_gemm_xdl_waveletmodel_cshuffleINS_53GridwiseGemm_k0mk1_k0nk1_mn_xdl_waveletmodel_cshuffleIDF16_fDF16_DF16_NS_16tensor_operation12element_wise11PassThroughES4_S4_LNS_25InMemoryDataOperationEnumE0ENS_16TensorDescriptorINS_5TupleIJNS_5EmbedINS7_IJiiEEENS7_IJiNS_17integral_constantIiLi1EEEEEELb0EEENS_11PassThroughIiEESF_EEENS7_IJNS_8SequenceIJLi0EEEENSH_IJLi1EEEENSH_IJLi2EEEEEEENS7_IJNSH_IJLi1ELi2EEEENSH_IJLi3EEEENSH_IJLi4EEEEEEENSH_IJLi3ELi4EEEElEESR_SR_Li1ELi256ELi256ELi256ELi128ELi32ELi8ELi8ELi16ELi16ELi8ELi4ENSH_IJLi4ELi64ELi1EEEENSH_IJLi1ELi0ELi2EEEEST_Li2ELi8ELi8ELb0ELi1ESS_ST_ST_Li2ELi8ELi8ELb0ELi1ELi1ELi1ENSH_IJLi1ELi32ELi1ELi8EEEELi4EEEDF16_DF16_S4_S4_S4_NS6_INS7_IJSD_SF_SF_NS_7UnMergeINS7_IJiNSA_IiLi8EEEEEELb0EEESF_EEENS7_IJSI_SJ_SK_SO_SN_EEENS7_IJSM_SN_SO_NSH_IJLi5ELi6EEEENSH_IJLi7EEEEEEENSH_IJLi5ELi7ELi6EEEElEES16_NS6_INS7_IJSD_SF_SF_NSW_INS7_IJiNSA_IiLi256EEEEEELb0EEENSW_INS7_IJiNSA_IiLi128EEEEEELb0EEEEEENS7_IJSI_SJ_SK_SN_SO_EEENS7_IJSM_SN_SO_S12_NSH_IJLi7ELi8EEEEEEENSH_IJLi5ELi6ELi7ELi8EEEElEENS_13TensorAdaptorINS7_IJNSW_ISC_Lb0EEES1K_NS_23Merge_v2_magic_divisionINS7_IJiiSB_SB_EEEEEEEENS7_IJSI_SJ_NSH_IJLi2ELi3ELi4ELi5EEEEEEENS7_IJNSH_IJLi2ELi4EEEENSH_IJLi3ELi5EEEENSH_IJLi6EEEEEEENSH_IJLi0ELi1EEEES1T_EELb1EEEvPKT0_S1Z_PT1_T2_T3_T4_T5_T6_T7_T8_.kd
    .uniform_work_group_size: 1
    .uses_dynamic_stack: false
    .vgpr_count:     0
    .vgpr_spill_count: 0
    .wavefront_size: 32
    .workgroup_processor_mode: 1
  - .args:
      - .actual_access:  read_only
        .address_space:  global
        .offset:         0
        .size:           8
        .value_kind:     global_buffer
      - .actual_access:  read_only
        .address_space:  global
        .offset:         8
        .size:           8
        .value_kind:     global_buffer
      - .actual_access:  read_only
        .address_space:  global
        .offset:         16
        .size:           8
        .value_kind:     global_buffer
      - .offset:         24
        .size:           1
        .value_kind:     by_value
      - .offset:         25
        .size:           1
        .value_kind:     by_value
      - .offset:         26
        .size:           1
        .value_kind:     by_value
      - .offset:         32
        .size:           56
        .value_kind:     by_value
      - .offset:         88
        .size:           56
        .value_kind:     by_value
      - .offset:         144
        .size:           64
        .value_kind:     by_value
      - .offset:         208
        .size:           68
        .value_kind:     by_value
    .group_segment_fixed_size: 0
    .kernarg_segment_align: 8
    .kernarg_segment_size: 276
    .language:       OpenCL C
    .language_version:
      - 2
      - 0
    .max_flat_workgroup_size: 512
    .name:           _ZN2ck37kernel_gemm_xdl_waveletmodel_cshuffleINS_53GridwiseGemm_k0mk1_k0nk1_mn_xdl_waveletmodel_cshuffleIDF16_fDF16_DF16_NS_16tensor_operation12element_wise11PassThroughES4_S4_LNS_25InMemoryDataOperationEnumE0ENS_16TensorDescriptorINS_5TupleIJNS_5EmbedINS7_IJiiEEENS7_IJiNS_17integral_constantIiLi1EEEEEELb0EEENS_11PassThroughIiEESF_EEENS7_IJNS_8SequenceIJLi0EEEENSH_IJLi1EEEENSH_IJLi2EEEEEEENS7_IJNSH_IJLi1ELi2EEEENSH_IJLi3EEEENSH_IJLi4EEEEEEENSH_IJLi3ELi4EEEElEESR_SR_Li1ELi256ELi256ELi256ELi128ELi32ELi8ELi8ELi16ELi16ELi8ELi4ENSH_IJLi4ELi64ELi1EEEENSH_IJLi1ELi0ELi2EEEEST_Li2ELi8ELi8ELb0ELi1ESS_ST_ST_Li2ELi8ELi8ELb0ELi1ELi1ELi1ENSH_IJLi1ELi32ELi1ELi8EEEELi4EEEDF16_DF16_S4_S4_S4_NS6_INS7_IJSD_SF_SF_NS_7UnMergeINS7_IJiNSA_IiLi8EEEEEELb0EEESF_EEENS7_IJSI_SJ_SK_SO_SN_EEENS7_IJSM_SN_SO_NSH_IJLi5ELi6EEEENSH_IJLi7EEEEEEENSH_IJLi5ELi7ELi6EEEElEES16_NS6_INS7_IJSD_SF_SF_NSW_INS7_IJiNSA_IiLi256EEEEEELb0EEENSW_INS7_IJiNSA_IiLi128EEEEEELb0EEEEEENS7_IJSI_SJ_SK_SN_SO_EEENS7_IJSM_SN_SO_S12_NSH_IJLi7ELi8EEEEEEENSH_IJLi5ELi6ELi7ELi8EEEElEENS_13TensorAdaptorINS7_IJNSW_ISC_Lb0EEES1K_NS_23Merge_v2_magic_divisionINS7_IJiiSB_SB_EEEEEEEENS7_IJSI_SJ_NSH_IJLi2ELi3ELi4ELi5EEEEEEENS7_IJNSH_IJLi2ELi4EEEENSH_IJLi3ELi5EEEENSH_IJLi6EEEEEEENSH_IJLi0ELi1EEEES1T_EELb0EEEvPKT0_S1Z_PT1_T2_T3_T4_T5_T6_T7_T8_
    .private_segment_fixed_size: 0
    .sgpr_count:     0
    .sgpr_spill_count: 0
    .symbol:         _ZN2ck37kernel_gemm_xdl_waveletmodel_cshuffleINS_53GridwiseGemm_k0mk1_k0nk1_mn_xdl_waveletmodel_cshuffleIDF16_fDF16_DF16_NS_16tensor_operation12element_wise11PassThroughES4_S4_LNS_25InMemoryDataOperationEnumE0ENS_16TensorDescriptorINS_5TupleIJNS_5EmbedINS7_IJiiEEENS7_IJiNS_17integral_constantIiLi1EEEEEELb0EEENS_11PassThroughIiEESF_EEENS7_IJNS_8SequenceIJLi0EEEENSH_IJLi1EEEENSH_IJLi2EEEEEEENS7_IJNSH_IJLi1ELi2EEEENSH_IJLi3EEEENSH_IJLi4EEEEEEENSH_IJLi3ELi4EEEElEESR_SR_Li1ELi256ELi256ELi256ELi128ELi32ELi8ELi8ELi16ELi16ELi8ELi4ENSH_IJLi4ELi64ELi1EEEENSH_IJLi1ELi0ELi2EEEEST_Li2ELi8ELi8ELb0ELi1ESS_ST_ST_Li2ELi8ELi8ELb0ELi1ELi1ELi1ENSH_IJLi1ELi32ELi1ELi8EEEELi4EEEDF16_DF16_S4_S4_S4_NS6_INS7_IJSD_SF_SF_NS_7UnMergeINS7_IJiNSA_IiLi8EEEEEELb0EEESF_EEENS7_IJSI_SJ_SK_SO_SN_EEENS7_IJSM_SN_SO_NSH_IJLi5ELi6EEEENSH_IJLi7EEEEEEENSH_IJLi5ELi7ELi6EEEElEES16_NS6_INS7_IJSD_SF_SF_NSW_INS7_IJiNSA_IiLi256EEEEEELb0EEENSW_INS7_IJiNSA_IiLi128EEEEEELb0EEEEEENS7_IJSI_SJ_SK_SN_SO_EEENS7_IJSM_SN_SO_S12_NSH_IJLi7ELi8EEEEEEENSH_IJLi5ELi6ELi7ELi8EEEElEENS_13TensorAdaptorINS7_IJNSW_ISC_Lb0EEES1K_NS_23Merge_v2_magic_divisionINS7_IJiiSB_SB_EEEEEEEENS7_IJSI_SJ_NSH_IJLi2ELi3ELi4ELi5EEEEEEENS7_IJNSH_IJLi2ELi4EEEENSH_IJLi3ELi5EEEENSH_IJLi6EEEEEEENSH_IJLi0ELi1EEEES1T_EELb0EEEvPKT0_S1Z_PT1_T2_T3_T4_T5_T6_T7_T8_.kd
    .uniform_work_group_size: 1
    .uses_dynamic_stack: false
    .vgpr_count:     0
    .vgpr_spill_count: 0
    .wavefront_size: 32
    .workgroup_processor_mode: 1
  - .args:
      - .address_space:  global
        .offset:         0
        .size:           8
        .value_kind:     global_buffer
      - .address_space:  global
        .offset:         8
        .size:           8
        .value_kind:     global_buffer
      - .address_space:  global
        .offset:         16
        .size:           8
        .value_kind:     global_buffer
      - .offset:         24
        .size:           1
        .value_kind:     by_value
      - .offset:         25
        .size:           1
        .value_kind:     by_value
      - .offset:         26
        .size:           1
        .value_kind:     by_value
      - .offset:         32
        .size:           56
        .value_kind:     by_value
      - .offset:         88
        .size:           56
        .value_kind:     by_value
      - .offset:         144
        .size:           64
        .value_kind:     by_value
      - .offset:         208
        .size:           68
        .value_kind:     by_value
    .group_segment_fixed_size: 24672
    .kernarg_segment_align: 8
    .kernarg_segment_size: 276
    .language:       OpenCL C
    .language_version:
      - 2
      - 0
    .max_flat_workgroup_size: 512
    .name:           _ZN2ck37kernel_gemm_xdl_waveletmodel_cshuffleINS_53GridwiseGemm_k0mk1_k0nk1_mn_xdl_waveletmodel_cshuffleIDF16_fDF16_DF16_NS_16tensor_operation12element_wise11PassThroughES4_S4_LNS_25InMemoryDataOperationEnumE0ENS_16TensorDescriptorINS_5TupleIJNS_5EmbedINS7_IJiiEEENS7_IJiNS_17integral_constantIiLi1EEEEEELb0EEENS_11PassThroughIiEESF_EEENS7_IJNS_8SequenceIJLi0EEEENSH_IJLi1EEEENSH_IJLi2EEEEEEENS7_IJNSH_IJLi1ELi2EEEENSH_IJLi3EEEENSH_IJLi4EEEEEEENSH_IJLi3ELi4EEEElEESR_SR_Li1ELi256ELi256ELi256ELi128ELi32ELi8ELi8ELi16ELi16ELi8ELi2ENSH_IJLi4ELi64ELi1EEEENSH_IJLi1ELi0ELi2EEEEST_Li2ELi8ELi8ELb0ELi1ESS_ST_ST_Li2ELi8ELi8ELb0ELi1ELi1ELi1ENSH_IJLi1ELi32ELi1ELi8EEEELi4EEEDF16_DF16_S4_S4_S4_NS6_INS7_IJSD_SF_SF_NS_7UnMergeINS7_IJiNSA_IiLi8EEEEEELb0EEESF_EEENS7_IJSI_SJ_SK_SO_SN_EEENS7_IJSM_SN_SO_NSH_IJLi5ELi6EEEENSH_IJLi7EEEEEEENSH_IJLi5ELi7ELi6EEEElEES16_NS6_INS7_IJSD_SF_SF_NSW_INS7_IJiNSA_IiLi256EEEEEELb0EEENSW_INS7_IJiNSA_IiLi128EEEEEELb0EEEEEENS7_IJSI_SJ_SK_SN_SO_EEENS7_IJSM_SN_SO_S12_NSH_IJLi7ELi8EEEEEEENSH_IJLi5ELi6ELi7ELi8EEEElEENS_13TensorAdaptorINS7_IJNSW_ISC_Lb0EEES1K_NS_23Merge_v2_magic_divisionINS7_IJiiSB_SB_EEEEEEEENS7_IJSI_SJ_NSH_IJLi2ELi3ELi4ELi5EEEEEEENS7_IJNSH_IJLi2ELi4EEEENSH_IJLi3ELi5EEEENSH_IJLi6EEEEEEENSH_IJLi0ELi1EEEES1T_EELb1EEEvPKT0_S1Z_PT1_T2_T3_T4_T5_T6_T7_T8_
    .private_segment_fixed_size: 92
    .sgpr_count:     16
    .sgpr_spill_count: 0
    .symbol:         _ZN2ck37kernel_gemm_xdl_waveletmodel_cshuffleINS_53GridwiseGemm_k0mk1_k0nk1_mn_xdl_waveletmodel_cshuffleIDF16_fDF16_DF16_NS_16tensor_operation12element_wise11PassThroughES4_S4_LNS_25InMemoryDataOperationEnumE0ENS_16TensorDescriptorINS_5TupleIJNS_5EmbedINS7_IJiiEEENS7_IJiNS_17integral_constantIiLi1EEEEEELb0EEENS_11PassThroughIiEESF_EEENS7_IJNS_8SequenceIJLi0EEEENSH_IJLi1EEEENSH_IJLi2EEEEEEENS7_IJNSH_IJLi1ELi2EEEENSH_IJLi3EEEENSH_IJLi4EEEEEEENSH_IJLi3ELi4EEEElEESR_SR_Li1ELi256ELi256ELi256ELi128ELi32ELi8ELi8ELi16ELi16ELi8ELi2ENSH_IJLi4ELi64ELi1EEEENSH_IJLi1ELi0ELi2EEEEST_Li2ELi8ELi8ELb0ELi1ESS_ST_ST_Li2ELi8ELi8ELb0ELi1ELi1ELi1ENSH_IJLi1ELi32ELi1ELi8EEEELi4EEEDF16_DF16_S4_S4_S4_NS6_INS7_IJSD_SF_SF_NS_7UnMergeINS7_IJiNSA_IiLi8EEEEEELb0EEESF_EEENS7_IJSI_SJ_SK_SO_SN_EEENS7_IJSM_SN_SO_NSH_IJLi5ELi6EEEENSH_IJLi7EEEEEEENSH_IJLi5ELi7ELi6EEEElEES16_NS6_INS7_IJSD_SF_SF_NSW_INS7_IJiNSA_IiLi256EEEEEELb0EEENSW_INS7_IJiNSA_IiLi128EEEEEELb0EEEEEENS7_IJSI_SJ_SK_SN_SO_EEENS7_IJSM_SN_SO_S12_NSH_IJLi7ELi8EEEEEEENSH_IJLi5ELi6ELi7ELi8EEEElEENS_13TensorAdaptorINS7_IJNSW_ISC_Lb0EEES1K_NS_23Merge_v2_magic_divisionINS7_IJiiSB_SB_EEEEEEEENS7_IJSI_SJ_NSH_IJLi2ELi3ELi4ELi5EEEEEEENS7_IJNSH_IJLi2ELi4EEEENSH_IJLi3ELi5EEEENSH_IJLi6EEEEEEENSH_IJLi0ELi1EEEES1T_EELb1EEEvPKT0_S1Z_PT1_T2_T3_T4_T5_T6_T7_T8_.kd
    .uniform_work_group_size: 1
    .uses_dynamic_stack: false
    .vgpr_count:     256
    .vgpr_spill_count: 30
    .wavefront_size: 32
    .workgroup_processor_mode: 1
  - .args:
      - .address_space:  global
        .offset:         0
        .size:           8
        .value_kind:     global_buffer
      - .address_space:  global
        .offset:         8
        .size:           8
        .value_kind:     global_buffer
      - .address_space:  global
        .offset:         16
        .size:           8
        .value_kind:     global_buffer
      - .offset:         24
        .size:           1
        .value_kind:     by_value
      - .offset:         25
        .size:           1
        .value_kind:     by_value
      - .offset:         26
        .size:           1
        .value_kind:     by_value
      - .offset:         32
        .size:           56
        .value_kind:     by_value
      - .offset:         88
        .size:           56
        .value_kind:     by_value
      - .offset:         144
        .size:           64
        .value_kind:     by_value
      - .offset:         208
        .size:           68
        .value_kind:     by_value
    .group_segment_fixed_size: 24672
    .kernarg_segment_align: 8
    .kernarg_segment_size: 276
    .language:       OpenCL C
    .language_version:
      - 2
      - 0
    .max_flat_workgroup_size: 512
    .name:           _ZN2ck37kernel_gemm_xdl_waveletmodel_cshuffleINS_53GridwiseGemm_k0mk1_k0nk1_mn_xdl_waveletmodel_cshuffleIDF16_fDF16_DF16_NS_16tensor_operation12element_wise11PassThroughES4_S4_LNS_25InMemoryDataOperationEnumE0ENS_16TensorDescriptorINS_5TupleIJNS_5EmbedINS7_IJiiEEENS7_IJiNS_17integral_constantIiLi1EEEEEELb0EEENS_11PassThroughIiEESF_EEENS7_IJNS_8SequenceIJLi0EEEENSH_IJLi1EEEENSH_IJLi2EEEEEEENS7_IJNSH_IJLi1ELi2EEEENSH_IJLi3EEEENSH_IJLi4EEEEEEENSH_IJLi3ELi4EEEElEESR_SR_Li1ELi256ELi256ELi256ELi128ELi32ELi8ELi8ELi16ELi16ELi8ELi2ENSH_IJLi4ELi64ELi1EEEENSH_IJLi1ELi0ELi2EEEEST_Li2ELi8ELi8ELb0ELi1ESS_ST_ST_Li2ELi8ELi8ELb0ELi1ELi1ELi1ENSH_IJLi1ELi32ELi1ELi8EEEELi4EEEDF16_DF16_S4_S4_S4_NS6_INS7_IJSD_SF_SF_NS_7UnMergeINS7_IJiNSA_IiLi8EEEEEELb0EEESF_EEENS7_IJSI_SJ_SK_SO_SN_EEENS7_IJSM_SN_SO_NSH_IJLi5ELi6EEEENSH_IJLi7EEEEEEENSH_IJLi5ELi7ELi6EEEElEES16_NS6_INS7_IJSD_SF_SF_NSW_INS7_IJiNSA_IiLi256EEEEEELb0EEENSW_INS7_IJiNSA_IiLi128EEEEEELb0EEEEEENS7_IJSI_SJ_SK_SN_SO_EEENS7_IJSM_SN_SO_S12_NSH_IJLi7ELi8EEEEEEENSH_IJLi5ELi6ELi7ELi8EEEElEENS_13TensorAdaptorINS7_IJNSW_ISC_Lb0EEES1K_NS_23Merge_v2_magic_divisionINS7_IJiiSB_SB_EEEEEEEENS7_IJSI_SJ_NSH_IJLi2ELi3ELi4ELi5EEEEEEENS7_IJNSH_IJLi2ELi4EEEENSH_IJLi3ELi5EEEENSH_IJLi6EEEEEEENSH_IJLi0ELi1EEEES1T_EELb0EEEvPKT0_S1Z_PT1_T2_T3_T4_T5_T6_T7_T8_
    .private_segment_fixed_size: 0
    .sgpr_count:     16
    .sgpr_spill_count: 0
    .symbol:         _ZN2ck37kernel_gemm_xdl_waveletmodel_cshuffleINS_53GridwiseGemm_k0mk1_k0nk1_mn_xdl_waveletmodel_cshuffleIDF16_fDF16_DF16_NS_16tensor_operation12element_wise11PassThroughES4_S4_LNS_25InMemoryDataOperationEnumE0ENS_16TensorDescriptorINS_5TupleIJNS_5EmbedINS7_IJiiEEENS7_IJiNS_17integral_constantIiLi1EEEEEELb0EEENS_11PassThroughIiEESF_EEENS7_IJNS_8SequenceIJLi0EEEENSH_IJLi1EEEENSH_IJLi2EEEEEEENS7_IJNSH_IJLi1ELi2EEEENSH_IJLi3EEEENSH_IJLi4EEEEEEENSH_IJLi3ELi4EEEElEESR_SR_Li1ELi256ELi256ELi256ELi128ELi32ELi8ELi8ELi16ELi16ELi8ELi2ENSH_IJLi4ELi64ELi1EEEENSH_IJLi1ELi0ELi2EEEEST_Li2ELi8ELi8ELb0ELi1ESS_ST_ST_Li2ELi8ELi8ELb0ELi1ELi1ELi1ENSH_IJLi1ELi32ELi1ELi8EEEELi4EEEDF16_DF16_S4_S4_S4_NS6_INS7_IJSD_SF_SF_NS_7UnMergeINS7_IJiNSA_IiLi8EEEEEELb0EEESF_EEENS7_IJSI_SJ_SK_SO_SN_EEENS7_IJSM_SN_SO_NSH_IJLi5ELi6EEEENSH_IJLi7EEEEEEENSH_IJLi5ELi7ELi6EEEElEES16_NS6_INS7_IJSD_SF_SF_NSW_INS7_IJiNSA_IiLi256EEEEEELb0EEENSW_INS7_IJiNSA_IiLi128EEEEEELb0EEEEEENS7_IJSI_SJ_SK_SN_SO_EEENS7_IJSM_SN_SO_S12_NSH_IJLi7ELi8EEEEEEENSH_IJLi5ELi6ELi7ELi8EEEElEENS_13TensorAdaptorINS7_IJNSW_ISC_Lb0EEES1K_NS_23Merge_v2_magic_divisionINS7_IJiiSB_SB_EEEEEEEENS7_IJSI_SJ_NSH_IJLi2ELi3ELi4ELi5EEEEEEENS7_IJNSH_IJLi2ELi4EEEENSH_IJLi3ELi5EEEENSH_IJLi6EEEEEEENSH_IJLi0ELi1EEEES1T_EELb0EEEvPKT0_S1Z_PT1_T2_T3_T4_T5_T6_T7_T8_.kd
    .uniform_work_group_size: 1
    .uses_dynamic_stack: false
    .vgpr_count:     183
    .vgpr_spill_count: 0
    .wavefront_size: 32
    .workgroup_processor_mode: 1
  - .args:
      - .actual_access:  read_only
        .address_space:  global
        .offset:         0
        .size:           8
        .value_kind:     global_buffer
      - .actual_access:  read_only
        .address_space:  global
        .offset:         8
        .size:           8
        .value_kind:     global_buffer
      - .actual_access:  write_only
        .address_space:  global
        .offset:         16
        .size:           8
        .value_kind:     global_buffer
      - .offset:         24
        .size:           4
        .value_kind:     by_value
      - .offset:         28
        .size:           4
        .value_kind:     by_value
      - .offset:         32
        .size:           4
        .value_kind:     by_value
      - .offset:         36
        .size:           1
        .value_kind:     by_value
      - .offset:         37
        .size:           1
        .value_kind:     by_value
      - .offset:         38
        .size:           1
        .value_kind:     by_value
      - .offset:         40
        .size:           4
        .value_kind:     hidden_block_count_x
      - .offset:         44
        .size:           4
        .value_kind:     hidden_block_count_y
      - .offset:         48
        .size:           4
        .value_kind:     hidden_block_count_z
      - .offset:         52
        .size:           2
        .value_kind:     hidden_group_size_x
      - .offset:         54
        .size:           2
        .value_kind:     hidden_group_size_y
      - .offset:         56
        .size:           2
        .value_kind:     hidden_group_size_z
      - .offset:         58
        .size:           2
        .value_kind:     hidden_remainder_x
      - .offset:         60
        .size:           2
        .value_kind:     hidden_remainder_y
      - .offset:         62
        .size:           2
        .value_kind:     hidden_remainder_z
      - .offset:         80
        .size:           8
        .value_kind:     hidden_global_offset_x
      - .offset:         88
        .size:           8
        .value_kind:     hidden_global_offset_y
      - .offset:         96
        .size:           8
        .value_kind:     hidden_global_offset_z
      - .offset:         104
        .size:           2
        .value_kind:     hidden_grid_dims
    .group_segment_fixed_size: 0
    .kernarg_segment_align: 8
    .kernarg_segment_size: 296
    .language:       OpenCL C
    .language_version:
      - 2
      - 0
    .max_flat_workgroup_size: 256
    .name:           _ZN2ck17naive_gemm_kernelINS_13tensor_layout4gemm8RowMajorENS2_11ColumnMajorES3_DF16_DF16_DF16_fNS_16tensor_operation12element_wise11PassThroughES7_S7_DF16_DF16_EEvPKT2_PKT3_PT4_iiiT6_T7_T8_
    .private_segment_fixed_size: 0
    .sgpr_count:     18
    .sgpr_spill_count: 0
    .symbol:         _ZN2ck17naive_gemm_kernelINS_13tensor_layout4gemm8RowMajorENS2_11ColumnMajorES3_DF16_DF16_DF16_fNS_16tensor_operation12element_wise11PassThroughES7_S7_DF16_DF16_EEvPKT2_PKT3_PT4_iiiT6_T7_T8_.kd
    .uniform_work_group_size: 1
    .uses_dynamic_stack: false
    .vgpr_count:     9
    .vgpr_spill_count: 0
    .wavefront_size: 32
    .workgroup_processor_mode: 1
amdhsa.target:   amdgcn-amd-amdhsa--gfx1100
amdhsa.version:
  - 1
  - 2
...

	.end_amdgpu_metadata
